;; amdgpu-corpus repo=ROCm/rocFFT kind=compiled arch=gfx950 opt=O3
	.text
	.amdgcn_target "amdgcn-amd-amdhsa--gfx950"
	.amdhsa_code_object_version 6
	.protected	bluestein_single_back_len1500_dim1_half_op_CI_CI ; -- Begin function bluestein_single_back_len1500_dim1_half_op_CI_CI
	.globl	bluestein_single_back_len1500_dim1_half_op_CI_CI
	.p2align	8
	.type	bluestein_single_back_len1500_dim1_half_op_CI_CI,@function
bluestein_single_back_len1500_dim1_half_op_CI_CI: ; @bluestein_single_back_len1500_dim1_half_op_CI_CI
; %bb.0:
	s_load_dwordx4 s[12:15], s[0:1], 0x28
	v_mul_u32_u24_e32 v1, 0x1b5, v0
	v_mov_b32_e32 v19, 0
	v_add_u32_sdwa v20, s2, v1 dst_sel:DWORD dst_unused:UNUSED_PAD src0_sel:DWORD src1_sel:WORD_1
	v_mov_b32_e32 v21, v19
	s_waitcnt lgkmcnt(0)
	v_cmp_gt_u64_e32 vcc, s[12:13], v[20:21]
	s_and_saveexec_b64 s[2:3], vcc
	s_cbranch_execz .LBB0_10
; %bb.1:
	s_load_dwordx4 s[4:7], s[0:1], 0x18
	s_load_dwordx4 s[8:11], s[0:1], 0x0
	v_mov_b32_e32 v2, s14
	v_mov_b32_e32 v3, s15
	s_movk_i32 s2, 0x96
	s_waitcnt lgkmcnt(0)
	s_load_dwordx4 s[12:15], s[4:5], 0x0
	v_mul_lo_u16_sdwa v1, v1, s2 dst_sel:DWORD dst_unused:UNUSED_PAD src0_sel:WORD_1 src1_sel:DWORD
	v_sub_u16_e32 v18, v0, v1
	v_lshlrev_b32_e32 v16, 2, v18
	global_load_dword v45, v16, s[8:9]
	s_waitcnt lgkmcnt(0)
	v_mad_u64_u32 v[0:1], s[2:3], s14, v20, 0
	v_mov_b32_e32 v4, v1
	v_mad_u64_u32 v[4:5], s[2:3], s15, v20, v[4:5]
	v_mov_b32_e32 v1, v4
	v_mad_u64_u32 v[4:5], s[2:3], s12, v18, 0
	v_mov_b32_e32 v6, v5
	v_mad_u64_u32 v[6:7], s[2:3], s13, v18, v[6:7]
	v_mov_b32_e32 v5, v6
	v_lshl_add_u64 v[0:1], v[0:1], 2, v[2:3]
	v_lshl_add_u64 v[0:1], v[4:5], 2, v[0:1]
	global_load_dword v4, v[0:1], off
	v_mov_b32_e32 v5, 0x4b0
	v_mad_u64_u32 v[0:1], s[2:3], s12, v5, v[0:1]
	s_mul_i32 s4, s13, 0x4b0
	v_add_u32_e32 v1, s4, v1
	global_load_dword v6, v[0:1], off
	global_load_dword v44, v16, s[8:9] offset:1200
	v_mad_u64_u32 v[0:1], s[2:3], s12, v5, v[0:1]
	v_add_u32_e32 v1, s4, v1
	global_load_dword v7, v[0:1], off
	global_load_dword v43, v16, s[8:9] offset:2400
	v_mad_u64_u32 v[0:1], s[2:3], s12, v5, v[0:1]
	v_add_u32_e32 v1, s4, v1
	global_load_dword v42, v16, s[8:9] offset:3600
	global_load_dword v8, v[0:1], off
	v_mov_b32_e32 v17, v19
	v_mad_u64_u32 v[0:1], s[2:3], s12, v5, v[0:1]
	v_lshl_add_u64 v[2:3], s[8:9], 0, v[16:17]
	s_movk_i32 s2, 0x1000
	v_add_u32_e32 v1, s4, v1
	v_add_co_u32_e32 v2, vcc, s2, v2
	global_load_dword v9, v[0:1], off
	s_nop 0
	v_addc_co_u32_e32 v3, vcc, 0, v3, vcc
	v_mov_b32_e32 v10, 0xffffef98
	global_load_dword v41, v[2:3], off offset:704
	v_mad_u64_u32 v[0:1], s[2:3], s12, v10, v[0:1]
	s_mul_i32 s2, s13, 0xffffef98
	s_sub_i32 s2, s2, s12
	v_add_u32_e32 v1, s2, v1
	global_load_dword v10, v[0:1], off
	global_load_dword v38, v16, s[8:9] offset:3000
	global_load_dword v39, v16, s[8:9] offset:1800
	;; [unrolled: 1-line block ×3, first 2 shown]
	v_mad_u64_u32 v[0:1], s[2:3], s12, v5, v[0:1]
	v_add_u32_e32 v1, s4, v1
	global_load_dword v11, v[0:1], off
	v_mad_u64_u32 v[0:1], s[2:3], s12, v5, v[0:1]
	v_add_u32_e32 v1, s4, v1
	global_load_dword v12, v[0:1], off
	;; [unrolled: 3-line block ×3, first 2 shown]
	global_load_dword v17, v[2:3], off offset:1304
	global_load_dword v21, v[2:3], off offset:104
	v_mad_u64_u32 v[0:1], s[2:3], s12, v5, v[0:1]
	v_add_u32_e32 v1, s4, v1
	global_load_dword v0, v[0:1], off
	s_mov_b64 s[2:3], 0x96
	v_lshl_add_u64 v[22:23], v[18:19], 0, s[2:3]
	v_add_u32_e32 v23, 0x400, v16
	v_add_u32_e32 v25, 0x800, v16
	;; [unrolled: 1-line block ×4, first 2 shown]
	s_load_dwordx4 s[4:7], s[6:7], 0x0
	s_movk_i32 s3, 0x3b9c
	s_movk_i32 s2, 0x38b4
	s_mov_b32 s13, 0xffff
	s_movk_i32 s12, 0x34f2
	s_waitcnt vmcnt(18)
	v_lshrrev_b32_e32 v1, 16, v4
	v_mul_f16_sdwa v2, v45, v4 dst_sel:DWORD dst_unused:UNUSED_PAD src0_sel:WORD_1 src1_sel:DWORD
	v_mul_f16_sdwa v3, v45, v1 dst_sel:DWORD dst_unused:UNUSED_PAD src0_sel:WORD_1 src1_sel:DWORD
	v_fma_f16 v1, v45, v1, -v2
	v_fma_f16 v2, v45, v4, v3
	s_waitcnt vmcnt(17)
	v_lshrrev_b32_e32 v3, 16, v6
	s_waitcnt vmcnt(16)
	v_mul_f16_sdwa v4, v44, v6 dst_sel:DWORD dst_unused:UNUSED_PAD src0_sel:WORD_1 src1_sel:DWORD
	v_pack_b32_f16 v1, v2, v1
	v_mul_f16_sdwa v2, v44, v3 dst_sel:DWORD dst_unused:UNUSED_PAD src0_sel:WORD_1 src1_sel:DWORD
	v_fma_f16 v3, v44, v3, -v4
	v_fma_f16 v2, v44, v6, v2
	s_waitcnt vmcnt(15)
	v_lshrrev_b32_e32 v4, 16, v7
	s_waitcnt vmcnt(14)
	v_mul_f16_sdwa v5, v43, v7 dst_sel:DWORD dst_unused:UNUSED_PAD src0_sel:WORD_1 src1_sel:DWORD
	v_pack_b32_f16 v2, v2, v3
	v_mul_f16_sdwa v3, v43, v4 dst_sel:DWORD dst_unused:UNUSED_PAD src0_sel:WORD_1 src1_sel:DWORD
	v_fma_f16 v4, v43, v4, -v5
	ds_write_b32 v16, v2 offset:1200
	v_fma_f16 v2, v43, v7, v3
	s_waitcnt vmcnt(12)
	v_lshrrev_b32_e32 v3, 16, v8
	v_pack_b32_f16 v2, v2, v4
	v_mul_f16_sdwa v4, v42, v3 dst_sel:DWORD dst_unused:UNUSED_PAD src0_sel:WORD_1 src1_sel:DWORD
	ds_write_b32 v16, v2 offset:2400
	v_fma_f16 v2, v42, v8, v4
	v_mul_f16_sdwa v4, v42, v8 dst_sel:DWORD dst_unused:UNUSED_PAD src0_sel:WORD_1 src1_sel:DWORD
	v_fma_f16 v3, v42, v3, -v4
	v_pack_b32_f16 v2, v2, v3
	ds_write_b32 v16, v2 offset:3600
	s_waitcnt vmcnt(11)
	v_lshrrev_b32_e32 v2, 16, v9
	s_waitcnt vmcnt(10)
	v_mul_f16_sdwa v3, v41, v2 dst_sel:DWORD dst_unused:UNUSED_PAD src0_sel:WORD_1 src1_sel:DWORD
	v_mul_f16_sdwa v4, v41, v9 dst_sel:DWORD dst_unused:UNUSED_PAD src0_sel:WORD_1 src1_sel:DWORD
	v_fma_f16 v3, v41, v9, v3
	v_fma_f16 v2, v41, v2, -v4
	v_pack_b32_f16 v2, v3, v2
	ds_write_b32 v16, v2 offset:4800
	s_waitcnt vmcnt(9)
	v_lshrrev_b32_e32 v2, 16, v10
	s_waitcnt vmcnt(6)
	v_mul_f16_sdwa v3, v40, v2 dst_sel:DWORD dst_unused:UNUSED_PAD src0_sel:WORD_1 src1_sel:DWORD
	v_mul_f16_sdwa v4, v40, v10 dst_sel:DWORD dst_unused:UNUSED_PAD src0_sel:WORD_1 src1_sel:DWORD
	v_fma_f16 v3, v40, v10, v3
	v_fma_f16 v2, v40, v2, -v4
	v_pack_b32_f16 v2, v3, v2
	ds_write2_b32 v16, v1, v2 offset1:150
	s_waitcnt vmcnt(5)
	v_lshrrev_b32_e32 v1, 16, v11
	v_mul_f16_sdwa v2, v39, v1 dst_sel:DWORD dst_unused:UNUSED_PAD src0_sel:WORD_1 src1_sel:DWORD
	v_mul_f16_sdwa v3, v39, v11 dst_sel:DWORD dst_unused:UNUSED_PAD src0_sel:WORD_1 src1_sel:DWORD
	v_fma_f16 v2, v39, v11, v2
	v_fma_f16 v1, v39, v1, -v3
	v_pack_b32_f16 v1, v2, v1
	ds_write_b32 v16, v1 offset:1800
	s_waitcnt vmcnt(4)
	v_lshrrev_b32_e32 v1, 16, v12
	v_mul_f16_sdwa v2, v38, v1 dst_sel:DWORD dst_unused:UNUSED_PAD src0_sel:WORD_1 src1_sel:DWORD
	v_mul_f16_sdwa v3, v38, v12 dst_sel:DWORD dst_unused:UNUSED_PAD src0_sel:WORD_1 src1_sel:DWORD
	v_fma_f16 v2, v38, v12, v2
	v_fma_f16 v1, v38, v1, -v3
	v_pack_b32_f16 v1, v2, v1
	ds_write_b32 v16, v1 offset:3000
	s_waitcnt vmcnt(3)
	v_lshrrev_b32_e32 v1, 16, v13
	s_waitcnt vmcnt(1)
	v_mul_f16_sdwa v2, v21, v1 dst_sel:DWORD dst_unused:UNUSED_PAD src0_sel:WORD_1 src1_sel:DWORD
	v_mul_f16_sdwa v3, v21, v13 dst_sel:DWORD dst_unused:UNUSED_PAD src0_sel:WORD_1 src1_sel:DWORD
	v_fma_f16 v2, v21, v13, v2
	v_fma_f16 v1, v21, v1, -v3
	v_pack_b32_f16 v1, v2, v1
	ds_write_b32 v16, v1 offset:4200
	s_waitcnt vmcnt(0)
	v_lshrrev_b32_e32 v1, 16, v0
	v_mul_f16_sdwa v2, v17, v1 dst_sel:DWORD dst_unused:UNUSED_PAD src0_sel:WORD_1 src1_sel:DWORD
	v_fma_f16 v2, v17, v0, v2
	v_mul_f16_sdwa v0, v17, v0 dst_sel:DWORD dst_unused:UNUSED_PAD src0_sel:WORD_1 src1_sel:DWORD
	v_fma_f16 v0, v17, v1, -v0
	v_pack_b32_f16 v0, v2, v0
	ds_write_b32 v16, v0 offset:5400
	v_mul_lo_u16_e32 v0, 5, v18
	v_mul_u32_u24_e32 v8, 5, v22
	s_waitcnt lgkmcnt(0)
	s_barrier
	v_lshlrev_b32_e32 v46, 2, v0
	ds_read2_b32 v[0:1], v23 offset0:44 offset1:194
	ds_read2_b32 v[2:3], v25 offset0:88 offset1:238
	ds_read2_b32 v[4:5], v24 offset0:4 offset1:154
	ds_read2_b32 v[6:7], v26 offset0:48 offset1:198
	v_lshlrev_b32_e32 v47, 2, v8
	ds_read2_b32 v[8:9], v16 offset1:150
	s_waitcnt lgkmcnt(3)
	v_pk_add_f16 v27, v1, v3 neg_lo:[0,1] neg_hi:[0,1]
	s_waitcnt lgkmcnt(2)
	v_pk_add_f16 v10, v3, v5 neg_lo:[0,1] neg_hi:[0,1]
	;; [unrolled: 2-line block ×3, first 2 shown]
	v_pk_add_f16 v12, v1, v7
	v_pk_add_f16 v28, v3, v1 neg_lo:[0,1] neg_hi:[0,1]
	s_waitcnt lgkmcnt(0)
	v_pk_add_f16 v1, v9, v1
	v_pk_add_f16 v13, v3, v5
	v_pk_fma_f16 v12, v12, 0.5, v9 op_sel_hi:[1,0,1] neg_lo:[1,0,0] neg_hi:[1,0,0]
	v_pk_mul_f16 v15, v10, s3 op_sel_hi:[1,0]
	v_pk_add_f16 v1, v1, v3
	v_pk_fma_f16 v13, v13, 0.5, v9 op_sel_hi:[1,0,1] neg_lo:[1,0,0] neg_hi:[1,0,0]
	v_pk_mul_f16 v14, v11, s3 op_sel_hi:[1,0]
	v_pk_mul_f16 v11, v11, s2 op_sel_hi:[1,0]
	v_pk_add_f16 v29, v7, v5 neg_lo:[0,1] neg_hi:[0,1]
	v_pk_add_f16 v30, v5, v7 neg_lo:[0,1] neg_hi:[0,1]
	v_pk_add_f16 v1, v1, v5
	v_pk_add_f16 v3, v12, v15 op_sel:[0,1] op_sel_hi:[1,0]
	v_pk_add_f16 v5, v12, v15 op_sel:[0,1] op_sel_hi:[1,0] neg_lo:[0,1] neg_hi:[0,1]
	v_pk_add_f16 v3, v3, v11 op_sel:[0,1] op_sel_hi:[1,0] neg_lo:[0,1] neg_hi:[0,1]
	v_pk_add_f16 v5, v5, v11 op_sel:[0,1] op_sel_hi:[1,0]
	v_pk_add_f16 v9, v13, v14 op_sel:[0,1] op_sel_hi:[1,0] neg_lo:[0,1] neg_hi:[0,1]
	v_pk_add_f16 v11, v13, v14 op_sel:[0,1] op_sel_hi:[1,0]
	v_pk_add_f16 v12, v2, v4 neg_lo:[0,1] neg_hi:[0,1]
	v_pk_add_f16 v13, v0, v6 neg_lo:[0,1] neg_hi:[0,1]
	v_pk_add_f16 v14, v0, v6
	v_pk_add_f16 v31, v0, v2 neg_lo:[0,1] neg_hi:[0,1]
	v_pk_add_f16 v32, v2, v0 neg_lo:[0,1] neg_hi:[0,1]
	v_pk_add_f16 v0, v8, v0
	v_pk_add_f16 v28, v28, v30
	;; [unrolled: 1-line block ×3, first 2 shown]
	v_pk_fma_f16 v14, v14, 0.5, v8 op_sel_hi:[1,0,1] neg_lo:[1,0,0] neg_hi:[1,0,0]
	v_pk_mul_f16 v30, v12, s3 op_sel_hi:[1,0]
	v_pk_add_f16 v0, v0, v2
	v_pk_add_f16 v27, v27, v29
	v_pk_fma_f16 v15, v15, 0.5, v8 op_sel_hi:[1,0,1] neg_lo:[1,0,0] neg_hi:[1,0,0]
	v_pk_mul_f16 v29, v13, s3 op_sel_hi:[1,0]
	v_pk_mul_f16 v13, v13, s2 op_sel_hi:[1,0]
	v_pk_add_f16 v33, v6, v4 neg_lo:[0,1] neg_hi:[0,1]
	v_pk_add_f16 v34, v4, v6 neg_lo:[0,1] neg_hi:[0,1]
	v_pk_add_f16 v0, v0, v4
	v_pk_add_f16 v2, v14, v30 op_sel:[0,1] op_sel_hi:[1,0]
	v_pk_add_f16 v4, v14, v30 op_sel:[0,1] op_sel_hi:[1,0] neg_lo:[0,1] neg_hi:[0,1]
	v_pk_mul_f16 v12, v12, s2 op_sel_hi:[1,0]
	v_pk_add_f16 v2, v2, v13 op_sel:[0,1] op_sel_hi:[1,0] neg_lo:[0,1] neg_hi:[0,1]
	v_pk_add_f16 v4, v4, v13 op_sel:[0,1] op_sel_hi:[1,0]
	v_pk_add_f16 v8, v15, v29 op_sel:[0,1] op_sel_hi:[1,0] neg_lo:[0,1] neg_hi:[0,1]
	v_pk_add_f16 v13, v15, v29 op_sel:[0,1] op_sel_hi:[1,0]
	;; [unrolled: 2-line block ×3, first 2 shown]
	v_pk_add_f16 v31, v31, v33
	v_bfi_b32 v13, s13, v8, v12
	v_bfi_b32 v8, s13, v12, v8
	v_pk_add_f16 v0, v0, v6
	v_pk_fma_f16 v8, v31, s12, v8 op_sel_hi:[1,0,1]
	v_pk_mul_f16 v10, v10, s2 op_sel_hi:[1,0]
	v_pk_add_f16 v32, v32, v34
	s_barrier
	ds_write2_b32 v46, v0, v8 offset1:1
	v_bfi_b32 v0, s13, v4, v2
	v_pk_add_f16 v9, v9, v10 op_sel:[0,1] op_sel_hi:[1,0] neg_lo:[0,1] neg_hi:[0,1]
	v_pk_add_f16 v10, v11, v10 op_sel:[0,1] op_sel_hi:[1,0]
	v_bfi_b32 v6, s13, v2, v4
	v_pk_fma_f16 v0, v32, s12, v0 op_sel_hi:[1,0,1]
	v_pk_fma_f16 v13, v31, s12, v13 op_sel_hi:[1,0,1]
	;; [unrolled: 1-line block ×3, first 2 shown]
	ds_write_b32 v46, v0 offset:8
	ds_write2_b32 v46, v6, v13 offset0:3 offset1:4
	v_bfi_b32 v0, s13, v10, v9
	v_pk_add_f16 v1, v1, v7
	v_pk_fma_f16 v0, v27, s12, v0 op_sel_hi:[1,0,1]
	ds_write2_b32 v47, v1, v0 offset1:1
	v_bfi_b32 v0, s13, v5, v3
	v_bfi_b32 v7, s13, v3, v5
	;; [unrolled: 1-line block ×3, first 2 shown]
	v_pk_fma_f16 v0, v28, s12, v0 op_sel_hi:[1,0,1]
	s_movk_i32 s13, 0xcd
	v_pk_fma_f16 v11, v27, s12, v11 op_sel_hi:[1,0,1]
	v_pk_fma_f16 v7, v28, s12, v7 op_sel_hi:[1,0,1]
	ds_write_b32 v47, v0 offset:8
	ds_write2_b32 v47, v7, v11 offset0:3 offset1:4
	v_mul_lo_u16_sdwa v0, v18, s13 dst_sel:DWORD dst_unused:UNUSED_PAD src0_sel:BYTE_0 src1_sel:DWORD
	v_lshrrev_b16_e32 v27, 10, v0
	v_mul_lo_u16_e32 v0, 5, v27
	v_sub_u16_e32 v0, v18, v0
	v_and_b32_e32 v30, 0xff, v0
	v_mad_u64_u32 v[8:9], s[14:15], v30, 36, s[10:11]
	s_waitcnt lgkmcnt(0)
	s_barrier
	global_load_dwordx4 v[0:3], v[8:9], off
	global_load_dwordx4 v[4:7], v[8:9], off offset:16
	global_load_dword v48, v[8:9], off offset:32
	ds_read2_b32 v[8:9], v16 offset1:150
	ds_read2_b32 v[10:11], v23 offset0:44 offset1:194
	ds_read2_b32 v[12:13], v25 offset0:88 offset1:238
	;; [unrolled: 1-line block ×4, first 2 shown]
	s_waitcnt lgkmcnt(4)
	v_lshrrev_b32_e32 v32, 16, v9
	s_waitcnt lgkmcnt(3)
	v_lshrrev_b32_e32 v33, 16, v10
	v_lshrrev_b32_e32 v34, 16, v11
	s_waitcnt lgkmcnt(2)
	v_lshrrev_b32_e32 v35, 16, v12
	v_lshrrev_b32_e32 v36, 16, v13
	s_waitcnt lgkmcnt(1)
	v_lshrrev_b32_e32 v37, 16, v14
	v_lshrrev_b32_e32 v49, 16, v15
	s_waitcnt lgkmcnt(0)
	v_lshrrev_b32_e32 v50, 16, v28
	v_lshrrev_b32_e32 v51, 16, v29
	v_lshrrev_b32_e32 v31, 16, v8
	s_mov_b32 s14, 0xbb9c
	s_mov_b32 s13, 0xb8b4
	s_movk_i32 s15, 0x3a79
	s_barrier
	s_waitcnt vmcnt(2)
	v_mul_f16_sdwa v52, v32, v0 dst_sel:DWORD dst_unused:UNUSED_PAD src0_sel:DWORD src1_sel:WORD_1
	v_fma_f16 v52, v9, v0, -v52
	v_mul_f16_sdwa v9, v9, v0 dst_sel:DWORD dst_unused:UNUSED_PAD src0_sel:DWORD src1_sel:WORD_1
	v_fma_f16 v9, v32, v0, v9
	v_mul_f16_sdwa v32, v33, v1 dst_sel:DWORD dst_unused:UNUSED_PAD src0_sel:DWORD src1_sel:WORD_1
	v_fma_f16 v32, v10, v1, -v32
	v_mul_f16_sdwa v10, v10, v1 dst_sel:DWORD dst_unused:UNUSED_PAD src0_sel:DWORD src1_sel:WORD_1
	v_fma_f16 v10, v33, v1, v10
	;; [unrolled: 4-line block ×4, first 2 shown]
	s_waitcnt vmcnt(1)
	v_mul_f16_sdwa v35, v36, v4 dst_sel:DWORD dst_unused:UNUSED_PAD src0_sel:DWORD src1_sel:WORD_1
	v_fma_f16 v35, v13, v4, -v35
	v_mul_f16_sdwa v13, v13, v4 dst_sel:DWORD dst_unused:UNUSED_PAD src0_sel:DWORD src1_sel:WORD_1
	v_fma_f16 v13, v36, v4, v13
	v_mul_f16_sdwa v36, v37, v5 dst_sel:DWORD dst_unused:UNUSED_PAD src0_sel:DWORD src1_sel:WORD_1
	v_fma_f16 v36, v14, v5, -v36
	v_mul_f16_sdwa v14, v14, v5 dst_sel:DWORD dst_unused:UNUSED_PAD src0_sel:DWORD src1_sel:WORD_1
	v_fma_f16 v14, v37, v5, v14
	;; [unrolled: 4-line block ×4, first 2 shown]
	s_waitcnt vmcnt(0)
	v_mul_f16_sdwa v50, v51, v48 dst_sel:DWORD dst_unused:UNUSED_PAD src0_sel:DWORD src1_sel:WORD_1
	v_fma_f16 v50, v29, v48, -v50
	v_mul_f16_sdwa v29, v29, v48 dst_sel:DWORD dst_unused:UNUSED_PAD src0_sel:DWORD src1_sel:WORD_1
	v_add_f16_e32 v53, v34, v36
	v_add_f16_e32 v55, v32, v49
	v_fma_f16 v29, v51, v48, v29
	v_add_f16_e32 v51, v8, v32
	v_fma_f16 v53, v53, -0.5, v8
	v_sub_f16_e32 v54, v10, v28
	v_fma_f16 v8, v55, -0.5, v8
	v_sub_f16_e32 v55, v32, v34
	v_sub_f16_e32 v56, v49, v36
	v_add_f16_e32 v55, v55, v56
	v_fma_f16 v56, v54, s3, v53
	v_sub_f16_e32 v57, v12, v14
	v_fma_f16 v53, v54, s14, v53
	v_fma_f16 v56, v57, s2, v56
	;; [unrolled: 1-line block ×5, first 2 shown]
	v_sub_f16_e32 v55, v34, v32
	v_sub_f16_e32 v58, v36, v49
	v_add_f16_e32 v55, v55, v58
	v_fma_f16 v58, v57, s14, v8
	v_fma_f16 v8, v57, s3, v8
	;; [unrolled: 1-line block ×4, first 2 shown]
	v_add_f16_e32 v51, v51, v34
	v_add_f16_e32 v51, v51, v36
	v_fma_f16 v54, v55, s12, v57
	v_fma_f16 v8, v55, s12, v8
	v_add_f16_e32 v55, v12, v14
	v_add_f16_e32 v51, v51, v49
	v_fma_f16 v55, v55, -0.5, v31
	v_sub_f16_e32 v32, v32, v49
	v_sub_f16_e32 v34, v34, v36
	;; [unrolled: 1-line block ×4, first 2 shown]
	v_add_f16_e32 v36, v36, v49
	v_fma_f16 v49, v32, s14, v55
	v_fma_f16 v55, v32, s3, v55
	;; [unrolled: 1-line block ×6, first 2 shown]
	v_add_f16_e32 v55, v10, v28
	v_fma_f16 v55, v55, -0.5, v31
	v_add_f16_e32 v31, v31, v10
	v_add_f16_e32 v31, v31, v12
	;; [unrolled: 1-line block ×3, first 2 shown]
	v_sub_f16_e32 v10, v12, v10
	v_sub_f16_e32 v14, v14, v28
	v_fma_f16 v12, v34, s3, v55
	v_add_f16_e32 v10, v10, v14
	v_fma_f16 v14, v34, s14, v55
	v_fma_f16 v12, v32, s13, v12
	;; [unrolled: 1-line block ×5, first 2 shown]
	v_add_f16_e32 v14, v35, v37
	v_add_f16_e32 v31, v31, v28
	v_fma_f16 v14, v14, -0.5, v52
	v_sub_f16_e32 v28, v11, v29
	v_sub_f16_e32 v34, v33, v35
	;; [unrolled: 1-line block ×3, first 2 shown]
	v_fma_f16 v32, v28, s3, v14
	v_add_f16_e32 v34, v34, v55
	v_sub_f16_e32 v55, v13, v15
	v_fma_f16 v14, v28, s14, v14
	v_fma_f16 v32, v55, s2, v32
	v_fma_f16 v14, v55, s13, v14
	v_fma_f16 v32, v34, s12, v32
	v_fma_f16 v14, v34, s12, v14
	v_sub_f16_e32 v34, v35, v33
	v_sub_f16_e32 v57, v37, v50
	v_add_f16_e32 v34, v34, v57
	v_add_f16_e32 v57, v33, v50
	v_fma_f16 v57, v57, -0.5, v52
	v_fma_f16 v58, v55, s14, v57
	v_fma_f16 v55, v55, s3, v57
	v_add_f16_e32 v52, v52, v33
	v_fma_f16 v57, v28, s2, v58
	v_fma_f16 v28, v28, s13, v55
	v_add_f16_e32 v52, v52, v35
	v_add_f16_e32 v52, v52, v37
	v_fma_f16 v55, v34, s12, v57
	v_fma_f16 v28, v34, s12, v28
	v_add_f16_e32 v34, v13, v15
	v_add_f16_e32 v52, v52, v50
	v_fma_f16 v34, v34, -0.5, v9
	v_sub_f16_e32 v33, v33, v50
	v_sub_f16_e32 v35, v35, v37
	;; [unrolled: 1-line block ×4, first 2 shown]
	v_add_f16_e32 v37, v37, v50
	v_fma_f16 v50, v33, s14, v34
	v_fma_f16 v34, v33, s3, v34
	;; [unrolled: 1-line block ×6, first 2 shown]
	v_add_f16_e32 v37, v11, v29
	v_fma_f16 v37, v37, -0.5, v9
	v_add_f16_e32 v9, v9, v11
	v_add_f16_e32 v9, v9, v13
	;; [unrolled: 1-line block ×3, first 2 shown]
	v_sub_f16_e32 v11, v13, v11
	v_sub_f16_e32 v15, v15, v29
	v_add_f16_e32 v9, v9, v29
	v_fma_f16 v13, v35, s3, v37
	v_add_f16_e32 v11, v11, v15
	v_fma_f16 v15, v35, s14, v37
	v_mul_f16_e32 v29, 0x38b4, v50
	v_fma_f16 v13, v33, s13, v13
	v_fma_f16 v15, v33, s2, v15
	;; [unrolled: 1-line block ×3, first 2 shown]
	v_mul_f16_e32 v32, 0xb8b4, v32
	v_fma_f16 v13, v11, s12, v13
	v_fma_f16 v11, v11, s12, v15
	v_fma_f16 v32, v50, s15, v32
	v_mul_f16_e32 v50, 0x34f2, v28
	v_mul_f16_e32 v35, 0x3b9c, v13
	v_fma_f16 v50, v11, s3, -v50
	v_mul_f16_e32 v11, 0x34f2, v11
	v_fma_f16 v35, v55, s12, v35
	v_mul_f16_e32 v55, 0xbb9c, v55
	v_fma_f16 v11, v28, s14, -v11
	v_mul_f16_e32 v28, 0x3a79, v14
	v_fma_f16 v13, v13, s12, v55
	v_fma_f16 v28, v34, s2, -v28
	v_mul_f16_e32 v34, 0x3a79, v34
	v_add_f16_e32 v15, v51, v52
	v_add_f16_e32 v33, v56, v29
	;; [unrolled: 1-line block ×3, first 2 shown]
	v_fma_f16 v14, v14, s13, -v34
	v_sub_f16_e32 v51, v51, v52
	v_add_f16_e32 v52, v31, v9
	v_sub_f16_e32 v29, v56, v29
	v_add_f16_e32 v56, v49, v32
	;; [unrolled: 2-line block ×3, first 2 shown]
	v_sub_f16_e32 v12, v12, v13
	v_mul_u32_u24_e32 v13, 50, v27
	v_add_f16_e32 v55, v8, v50
	v_add_f16_e32 v34, v53, v28
	v_sub_f16_e32 v8, v8, v50
	v_add_f16_e32 v50, v10, v11
	v_sub_f16_e32 v28, v53, v28
	;; [unrolled: 2-line block ×3, first 2 shown]
	v_sub_f16_e32 v31, v49, v32
	v_sub_f16_e32 v10, v10, v11
	;; [unrolled: 1-line block ×3, first 2 shown]
	v_add_lshl_u32 v49, v13, v30, 2
	v_pack_b32_f16 v13, v15, v52
	v_pack_b32_f16 v14, v33, v56
	ds_write2_b32 v49, v13, v14 offset1:5
	v_pack_b32_f16 v13, v37, v54
	v_pack_b32_f16 v14, v55, v50
	ds_write2_b32 v49, v13, v14 offset0:10 offset1:15
	v_pack_b32_f16 v13, v34, v53
	v_pack_b32_f16 v9, v51, v9
	ds_write2_b32 v49, v13, v9 offset0:20 offset1:25
	;; [unrolled: 3-line block ×4, first 2 shown]
	v_mov_b32_e32 v8, 41
	v_mul_lo_u16_sdwa v8, v18, v8 dst_sel:DWORD dst_unused:UNUSED_PAD src0_sel:BYTE_0 src1_sel:DWORD
	v_lshrrev_b16_e32 v34, 11, v8
	v_mul_lo_u16_e32 v8, 50, v34
	v_sub_u16_e32 v8, v18, v8
	v_and_b32_e32 v35, 0xff, v8
	v_mad_u64_u32 v[28:29], s[16:17], v35, 36, s[10:11]
	s_waitcnt lgkmcnt(0)
	s_barrier
	global_load_dwordx4 v[8:11], v[28:29], off offset:180
	global_load_dwordx4 v[12:15], v[28:29], off offset:196
	global_load_dword v50, v[28:29], off offset:212
	ds_read2_b32 v[28:29], v23 offset0:44 offset1:194
	ds_read2_b32 v[30:31], v25 offset0:88 offset1:238
	;; [unrolled: 1-line block ×4, first 2 shown]
	s_waitcnt lgkmcnt(3)
	v_lshrrev_b32_e32 v25, 16, v28
	v_lshrrev_b32_e32 v36, 16, v29
	s_waitcnt lgkmcnt(2)
	v_lshrrev_b32_e32 v37, 16, v30
	v_lshrrev_b32_e32 v51, 16, v31
	;; [unrolled: 3-line block ×3, first 2 shown]
	s_waitcnt lgkmcnt(0)
	v_lshrrev_b32_e32 v54, 16, v26
	s_waitcnt vmcnt(2)
	v_mul_f16_sdwa v55, v25, v9 dst_sel:DWORD dst_unused:UNUSED_PAD src0_sel:DWORD src1_sel:WORD_1
	v_fma_f16 v55, v28, v9, -v55
	v_mul_f16_sdwa v28, v28, v9 dst_sel:DWORD dst_unused:UNUSED_PAD src0_sel:DWORD src1_sel:WORD_1
	v_fma_f16 v25, v25, v9, v28
	v_mul_f16_sdwa v28, v36, v10 dst_sel:DWORD dst_unused:UNUSED_PAD src0_sel:DWORD src1_sel:WORD_1
	v_fma_f16 v56, v29, v10, -v28
	v_mul_f16_sdwa v28, v29, v10 dst_sel:DWORD dst_unused:UNUSED_PAD src0_sel:DWORD src1_sel:WORD_1
	v_fma_f16 v36, v36, v10, v28
	v_mul_f16_sdwa v28, v37, v11 dst_sel:DWORD dst_unused:UNUSED_PAD src0_sel:DWORD src1_sel:WORD_1
	v_fma_f16 v57, v30, v11, -v28
	v_mul_f16_sdwa v28, v30, v11 dst_sel:DWORD dst_unused:UNUSED_PAD src0_sel:DWORD src1_sel:WORD_1
	v_fma_f16 v30, v37, v11, v28
	s_waitcnt vmcnt(1)
	v_mul_f16_sdwa v28, v51, v12 dst_sel:DWORD dst_unused:UNUSED_PAD src0_sel:DWORD src1_sel:WORD_1
	v_fma_f16 v37, v31, v12, -v28
	v_mul_f16_sdwa v28, v31, v12 dst_sel:DWORD dst_unused:UNUSED_PAD src0_sel:DWORD src1_sel:WORD_1
	v_fma_f16 v31, v51, v12, v28
	v_mul_f16_sdwa v28, v52, v13 dst_sel:DWORD dst_unused:UNUSED_PAD src0_sel:DWORD src1_sel:WORD_1
	v_fma_f16 v51, v32, v13, -v28
	v_mul_f16_sdwa v28, v32, v13 dst_sel:DWORD dst_unused:UNUSED_PAD src0_sel:DWORD src1_sel:WORD_1
	v_fma_f16 v32, v52, v13, v28
	v_mul_f16_sdwa v28, v53, v14 dst_sel:DWORD dst_unused:UNUSED_PAD src0_sel:DWORD src1_sel:WORD_1
	v_fma_f16 v52, v33, v14, -v28
	v_mul_f16_sdwa v28, v33, v14 dst_sel:DWORD dst_unused:UNUSED_PAD src0_sel:DWORD src1_sel:WORD_1
	v_fma_f16 v53, v53, v14, v28
	v_mul_f16_sdwa v28, v26, v15 dst_sel:DWORD dst_unused:UNUSED_PAD src0_sel:DWORD src1_sel:WORD_1
	v_fma_f16 v58, v54, v15, v28
	v_mul_f16_sdwa v28, v54, v15 dst_sel:DWORD dst_unused:UNUSED_PAD src0_sel:DWORD src1_sel:WORD_1
	v_fma_f16 v26, v26, v15, -v28
	ds_read2_b32 v[28:29], v16 offset1:150
	v_lshrrev_b32_e32 v33, 16, v27
	s_waitcnt vmcnt(0)
	v_mul_f16_sdwa v54, v33, v50 dst_sel:DWORD dst_unused:UNUSED_PAD src0_sel:DWORD src1_sel:WORD_1
	v_fma_f16 v54, v27, v50, -v54
	v_mul_f16_sdwa v27, v27, v50 dst_sel:DWORD dst_unused:UNUSED_PAD src0_sel:DWORD src1_sel:WORD_1
	v_fma_f16 v27, v33, v50, v27
	s_waitcnt lgkmcnt(0)
	v_lshrrev_b32_e32 v33, 16, v29
	v_mul_f16_sdwa v59, v29, v8 dst_sel:DWORD dst_unused:UNUSED_PAD src0_sel:DWORD src1_sel:WORD_1
	v_fma_f16 v59, v33, v8, v59
	v_mul_f16_sdwa v33, v33, v8 dst_sel:DWORD dst_unused:UNUSED_PAD src0_sel:DWORD src1_sel:WORD_1
	v_fma_f16 v29, v29, v8, -v33
	v_add_f16_e32 v33, v57, v51
	v_add_f16_e32 v60, v55, v26
	v_sub_f16_e32 v62, v55, v57
	v_sub_f16_e32 v63, v26, v51
	v_fma_f16 v33, v33, -0.5, v28
	v_fma_f16 v60, v60, -0.5, v28
	v_lshrrev_b32_e32 v61, 16, v28
	v_add_f16_e32 v28, v28, v55
	v_add_f16_e32 v62, v62, v63
	v_sub_f16_e32 v63, v25, v58
	v_fma_f16 v64, v63, s3, v33
	v_sub_f16_e32 v65, v30, v32
	v_fma_f16 v33, v63, s14, v33
	v_add_f16_e32 v28, v28, v57
	v_fma_f16 v64, v65, s2, v64
	v_fma_f16 v33, v65, s13, v33
	v_add_f16_e32 v28, v28, v51
	v_fma_f16 v64, v62, s12, v64
	v_fma_f16 v33, v62, s12, v33
	v_sub_f16_e32 v62, v57, v55
	v_sub_f16_e32 v66, v51, v26
	v_add_f16_e32 v28, v28, v26
	v_sub_f16_e32 v26, v55, v26
	v_sub_f16_e32 v51, v57, v51
	;; [unrolled: 1-line block ×4, first 2 shown]
	v_add_f16_e32 v62, v62, v66
	v_fma_f16 v66, v65, s14, v60
	v_fma_f16 v60, v65, s3, v60
	v_add_f16_e32 v55, v55, v57
	v_add_f16_e32 v57, v30, v32
	v_fma_f16 v65, v63, s2, v66
	v_fma_f16 v60, v63, s13, v60
	v_fma_f16 v57, v57, -0.5, v61
	v_fma_f16 v63, v62, s12, v65
	v_fma_f16 v60, v62, s12, v60
	v_fma_f16 v62, v26, s14, v57
	v_fma_f16 v57, v26, s3, v57
	v_fma_f16 v62, v51, s13, v62
	v_fma_f16 v57, v51, s2, v57
	v_fma_f16 v62, v55, s12, v62
	v_fma_f16 v55, v55, s12, v57
	v_add_f16_e32 v57, v25, v58
	v_fma_f16 v57, v57, -0.5, v61
	v_add_f16_e32 v61, v61, v25
	v_add_f16_e32 v61, v61, v30
	v_sub_f16_e32 v25, v30, v25
	v_add_f16_e32 v30, v61, v32
	v_sub_f16_e32 v32, v32, v58
	v_add_f16_e32 v25, v25, v32
	v_fma_f16 v32, v51, s3, v57
	v_fma_f16 v51, v51, s14, v57
	;; [unrolled: 1-line block ×6, first 2 shown]
	v_sub_f16_e32 v26, v56, v37
	v_sub_f16_e32 v51, v54, v52
	v_add_f16_e32 v26, v26, v51
	v_add_f16_e32 v51, v37, v52
	v_fma_f16 v51, v51, -0.5, v29
	v_sub_f16_e32 v57, v36, v27
	v_add_f16_e32 v30, v30, v58
	v_fma_f16 v58, v57, s3, v51
	v_sub_f16_e32 v61, v31, v53
	v_fma_f16 v51, v57, s14, v51
	v_fma_f16 v58, v61, s2, v58
	;; [unrolled: 1-line block ×5, first 2 shown]
	v_sub_f16_e32 v51, v37, v56
	v_sub_f16_e32 v65, v52, v54
	v_add_f16_e32 v51, v51, v65
	v_add_f16_e32 v65, v56, v54
	v_fma_f16 v65, v65, -0.5, v29
	v_add_f16_e32 v29, v29, v56
	v_add_f16_e32 v29, v29, v37
	;; [unrolled: 1-line block ×4, first 2 shown]
	v_sub_f16_e32 v54, v56, v54
	v_sub_f16_e32 v37, v37, v52
	;; [unrolled: 1-line block ×4, first 2 shown]
	v_fma_f16 v66, v61, s14, v65
	v_fma_f16 v61, v61, s3, v65
	v_add_f16_e32 v52, v52, v56
	v_add_f16_e32 v56, v31, v53
	v_fma_f16 v65, v57, s2, v66
	v_fma_f16 v57, v57, s13, v61
	v_fma_f16 v56, v56, -0.5, v59
	v_fma_f16 v61, v51, s12, v65
	v_fma_f16 v51, v51, s12, v57
	;; [unrolled: 1-line block ×8, first 2 shown]
	v_add_f16_e32 v56, v36, v27
	v_fma_f16 v56, v56, -0.5, v59
	v_add_f16_e32 v59, v59, v36
	v_add_f16_e32 v59, v59, v31
	v_sub_f16_e32 v31, v31, v36
	v_add_f16_e32 v36, v59, v53
	v_add_f16_e32 v36, v36, v27
	v_sub_f16_e32 v27, v53, v27
	v_add_f16_e32 v27, v31, v27
	v_fma_f16 v31, v37, s3, v56
	v_fma_f16 v37, v37, s14, v56
	;; [unrolled: 1-line block ×5, first 2 shown]
	v_mul_f16_e32 v56, 0xbb9c, v61
	v_fma_f16 v27, v27, s12, v37
	v_mul_f16_e32 v54, 0x3b9c, v31
	v_fma_f16 v31, v31, s12, v56
	v_mul_f16_e32 v56, 0x34f2, v51
	v_fma_f16 v56, v27, s3, -v56
	v_mul_f16_e32 v27, 0x34f2, v27
	v_fma_f16 v27, v51, s14, -v27
	v_mul_f16_e32 v51, 0x3a79, v26
	v_mul_f16_e32 v37, 0x38b4, v57
	;; [unrolled: 1-line block ×3, first 2 shown]
	v_fma_f16 v51, v52, s2, -v51
	v_mul_f16_e32 v52, 0x3a79, v52
	v_fma_f16 v37, v58, s15, v37
	v_fma_f16 v53, v57, s15, v53
	v_fma_f16 v26, v26, s13, -v52
	v_fma_f16 v54, v61, s12, v54
	v_add_f16_e32 v57, v28, v29
	v_sub_f16_e32 v28, v28, v29
	v_add_f16_e32 v29, v64, v37
	v_add_f16_e32 v59, v60, v56
	v_sub_f16_e32 v56, v60, v56
	v_add_f16_e32 v60, v33, v51
	v_sub_f16_e32 v52, v33, v51
	;; [unrolled: 2-line block ×7, first 2 shown]
	v_mul_u32_u24_e32 v26, 0x1f4, v34
	v_add_f16_e32 v58, v63, v54
	v_add_lshl_u32 v51, v26, v35, 2
	v_pack_b32_f16 v26, v57, v33
	v_pack_b32_f16 v29, v29, v36
	s_barrier
	ds_write2_b32 v51, v26, v29 offset1:50
	v_pack_b32_f16 v26, v58, v62
	v_pack_b32_f16 v29, v59, v32
	v_sub_f16_e32 v37, v64, v37
	v_sub_f16_e32 v54, v63, v54
	ds_write2_b32 v51, v26, v29 offset0:100 offset1:150
	v_pack_b32_f16 v26, v60, v27
	v_pack_b32_f16 v27, v28, v30
	ds_write2_b32 v51, v26, v27 offset0:200 offset1:250
	v_pack_b32_f16 v26, v37, v61
	v_pack_b32_f16 v27, v54, v31
	v_add_u32_e32 v28, 0x400, v51
	ds_write2_b32 v28, v26, v27 offset0:44 offset1:94
	v_pack_b32_f16 v25, v56, v25
	v_pack_b32_f16 v26, v52, v53
	ds_write2_b32 v28, v25, v26 offset0:144 offset1:194
	s_waitcnt lgkmcnt(0)
	s_barrier
	ds_read2_b32 v[32:33], v16 offset1:150
	ds_read2_b32 v[30:31], v23 offset0:44 offset1:244
	ds_read2_b32 v[36:37], v24 offset0:104 offset1:254
	v_add_u32_e32 v54, 0xa00, v16
	s_load_dwordx2 s[2:3], s[0:1], 0x38
	ds_read2_b32 v[34:35], v54 offset0:10 offset1:160
	ds_read_b32 v59, v16 offset:5200
	v_cmp_gt_u16_e64 s[0:1], 50, v18
                                        ; implicit-def: $vgpr55
                                        ; implicit-def: $vgpr57
                                        ; implicit-def: $vgpr56
                                        ; implicit-def: $vgpr58
	s_and_saveexec_b64 s[12:13], s[0:1]
	s_cbranch_execz .LBB0_3
; %bb.2:
	ds_read_b32 v52, v16 offset:1800
	ds_read_b32 v55, v16 offset:3800
	;; [unrolled: 1-line block ×3, first 2 shown]
	s_waitcnt lgkmcnt(0)
	v_lshrrev_b32_e32 v53, 16, v52
	v_lshrrev_b32_e32 v57, 16, v55
	v_lshrrev_b32_e32 v58, 16, v56
.LBB0_3:
	s_or_b64 exec, exec, s[12:13]
	v_lshlrev_b32_e32 v23, 3, v18
	v_lshlrev_b32_e32 v22, 3, v22
	s_movk_i32 s14, 0xffce
	global_load_dwordx2 v[24:25], v23, s[10:11] offset:1980
	global_load_dwordx2 v[26:27], v22, s[10:11] offset:1980
	v_add_u32_e32 v22, 0x960, v23
	s_mov_b64 s[12:13], 0x1c2
	s_mov_b32 s15, -1
	global_load_dwordx2 v[28:29], v22, s[10:11] offset:1980
	v_lshl_add_u64 v[22:23], v[18:19], 0, s[12:13]
	v_lshl_add_u64 v[60:61], v[18:19], 0, s[14:15]
	v_cndmask_b32_e64 v23, v61, v23, s[0:1]
	v_cndmask_b32_e64 v22, v60, v22, s[0:1]
	v_lshl_add_u64 v[22:23], v[22:23], 3, s[10:11]
	global_load_dwordx2 v[22:23], v[22:23], off offset:1980
	s_waitcnt lgkmcnt(0)
	v_lshrrev_b32_e32 v61, 16, v36
	v_lshrrev_b32_e32 v60, 16, v31
	;; [unrolled: 1-line block ×7, first 2 shown]
	s_movk_i32 s10, 0x3aee
	s_mov_b32 s11, 0xbaee
	v_lshrrev_b32_e32 v62, 16, v33
	v_lshrrev_b32_e32 v65, 16, v30
	s_waitcnt vmcnt(3)
	v_mul_f16_sdwa v69, v31, v24 dst_sel:DWORD dst_unused:UNUSED_PAD src0_sel:DWORD src1_sel:WORD_1
	v_mul_f16_sdwa v70, v61, v25 dst_sel:DWORD dst_unused:UNUSED_PAD src0_sel:DWORD src1_sel:WORD_1
	;; [unrolled: 1-line block ×4, first 2 shown]
	v_fma_f16 v60, v60, v24, v69
	v_fma_f16 v36, v36, v25, -v70
	v_fma_f16 v61, v61, v25, v71
	s_waitcnt vmcnt(1)
	v_mul_f16_sdwa v70, v67, v29 dst_sel:DWORD dst_unused:UNUSED_PAD src0_sel:DWORD src1_sel:WORD_1
	v_mul_f16_sdwa v71, v59, v29 dst_sel:DWORD dst_unused:UNUSED_PAD src0_sel:DWORD src1_sel:WORD_1
	;; [unrolled: 1-line block ×4, first 2 shown]
	v_fma_f16 v31, v31, v24, -v68
	v_mul_f16_sdwa v68, v66, v28 dst_sel:DWORD dst_unused:UNUSED_PAD src0_sel:DWORD src1_sel:WORD_1
	v_mul_f16_sdwa v69, v35, v28 dst_sel:DWORD dst_unused:UNUSED_PAD src0_sel:DWORD src1_sel:WORD_1
	v_fma_f16 v59, v59, v29, -v70
	v_fma_f16 v67, v67, v29, v71
	v_sub_f16_e32 v70, v60, v61
	v_add_f16_e32 v71, v19, v60
	v_add_f16_e32 v60, v60, v61
	v_mul_f16_sdwa v73, v34, v26 dst_sel:DWORD dst_unused:UNUSED_PAD src0_sel:DWORD src1_sel:WORD_1
	v_mul_f16_sdwa v75, v37, v27 dst_sel:DWORD dst_unused:UNUSED_PAD src0_sel:DWORD src1_sel:WORD_1
	v_fma_f16 v34, v34, v26, -v72
	v_fma_f16 v37, v37, v27, -v74
	v_fma_f16 v68, v35, v28, -v68
	v_fma_f16 v66, v66, v28, v69
	v_add_f16_e32 v35, v32, v31
	v_add_f16_e32 v69, v31, v36
	v_sub_f16_e32 v31, v31, v36
	s_waitcnt vmcnt(0)
	v_mul_f16_sdwa v77, v55, v22 dst_sel:DWORD dst_unused:UNUSED_PAD src0_sel:DWORD src1_sel:WORD_1
	v_mul_f16_sdwa v79, v56, v23 dst_sel:DWORD dst_unused:UNUSED_PAD src0_sel:DWORD src1_sel:WORD_1
	v_fma_f16 v19, v60, -0.5, v19
	v_fma_f16 v63, v63, v26, v73
	v_add_f16_e32 v72, v33, v34
	v_add_f16_e32 v73, v34, v37
	v_sub_f16_e32 v76, v34, v37
	v_mul_f16_sdwa v34, v57, v22 dst_sel:DWORD dst_unused:UNUSED_PAD src0_sel:DWORD src1_sel:WORD_1
	v_mul_f16_sdwa v78, v58, v23 dst_sel:DWORD dst_unused:UNUSED_PAD src0_sel:DWORD src1_sel:WORD_1
	v_add_f16_e32 v80, v35, v36
	v_fma_f16 v32, v69, -0.5, v32
	v_fma_f16 v35, v57, v22, v77
	v_fma_f16 v36, v58, v23, v79
	;; [unrolled: 1-line block ×4, first 2 shown]
	v_add_f16_e32 v19, v30, v68
	v_fma_f16 v60, v73, -0.5, v33
	v_fma_f16 v33, v55, v22, -v34
	v_fma_f16 v34, v56, v23, -v78
	v_fma_f16 v55, v70, s10, v32
	v_fma_f16 v56, v70, s11, v32
	v_add_f16_e32 v70, v19, v59
	v_add_f16_e32 v19, v68, v59
	v_fma_f16 v19, v19, -0.5, v30
	v_sub_f16_e32 v30, v66, v67
	v_add_f16_e32 v61, v71, v61
	v_add_f16_e32 v37, v72, v37
	v_fma_f16 v71, v30, s10, v19
	v_fma_f16 v72, v30, s11, v19
	v_add_f16_e32 v19, v65, v66
	v_add_f16_e32 v73, v19, v67
	;; [unrolled: 1-line block ×3, first 2 shown]
	v_fma_f16 v64, v64, v27, v75
	v_fma_f16 v19, v19, -0.5, v65
	v_sub_f16_e32 v30, v68, v59
	v_sub_f16_e32 v74, v63, v64
	v_add_f16_e32 v75, v62, v63
	v_add_f16_e32 v63, v63, v64
	v_fma_f16 v59, v30, s11, v19
	v_fma_f16 v65, v30, s10, v19
	v_add_f16_e32 v19, v33, v34
	v_add_f16_e32 v64, v75, v64
	v_fma_f16 v62, v63, -0.5, v62
	v_fma_f16 v30, v19, -0.5, v52
	v_sub_f16_e32 v31, v35, v36
	v_pack_b32_f16 v55, v55, v57
	v_fma_f16 v63, v74, s10, v60
	v_fma_f16 v69, v76, s11, v62
	;; [unrolled: 1-line block ×4, first 2 shown]
	v_add_f16_e32 v31, v35, v36
	v_pack_b32_f16 v61, v80, v61
	ds_write_b32 v16, v55 offset:2000
	v_pack_b32_f16 v55, v56, v58
	v_pack_b32_f16 v37, v37, v64
	;; [unrolled: 1-line block ×3, first 2 shown]
	v_fma_f16 v60, v74, s11, v60
	v_fma_f16 v62, v76, s10, v62
	v_fma_f16 v32, v31, -0.5, v53
	v_sub_f16_e32 v66, v33, v34
	ds_write_b32 v16, v55 offset:4000
	ds_write2_b32 v16, v61, v37 offset1:150
	v_pack_b32_f16 v37, v63, v69
	ds_write_b32 v16, v56 offset:1200
	v_pack_b32_f16 v56, v71, v59
	v_fma_f16 v31, v66, s11, v32
	v_fma_f16 v32, v66, s10, v32
	v_pack_b32_f16 v55, v60, v62
	ds_write2_b32 v54, v37, v56 offset0:10 offset1:160
	v_pack_b32_f16 v37, v72, v65
	v_add_u32_e32 v54, 0x1100, v16
	ds_write2_b32 v54, v55, v37 offset0:62 offset1:212
	s_and_saveexec_b64 s[10:11], s[0:1]
	s_cbranch_execz .LBB0_5
; %bb.4:
	v_add_f16_e32 v35, v53, v35
	v_add_f16_e32 v33, v52, v33
	;; [unrolled: 1-line block ×4, first 2 shown]
	v_pack_b32_f16 v33, v33, v35
	s_mov_b32 s12, 0x5040100
	ds_write_b32 v16, v33 offset:1800
	v_perm_b32 v33, v31, v19, s12
	ds_write_b32 v16, v33 offset:3800
	v_perm_b32 v33, v32, v30, s12
	ds_write_b32 v16, v33 offset:5800
.LBB0_5:
	s_or_b64 exec, exec, s[10:11]
	v_lshlrev_b32_e32 v34, 2, v18
	v_mov_b32_e32 v35, 0
	v_lshl_add_u64 v[34:35], s[8:9], 0, v[34:35]
	v_add_co_u32_e32 v52, vcc, 0x1000, v34
	s_mov_b64 s[8:9], 0x1770
	s_nop 0
	v_addc_co_u32_e32 v53, vcc, 0, v35, vcc
	s_waitcnt lgkmcnt(0)
	s_barrier
	v_lshl_add_u64 v[36:37], v[34:35], 0, s[8:9]
	global_load_dword v54, v[52:53], off offset:1904
	global_load_dword v58, v[36:37], off offset:3000
	;; [unrolled: 1-line block ×6, first 2 shown]
	s_movk_i32 s8, 0x2000
	v_add_co_u32_e32 v34, vcc, s8, v34
	v_add_u32_e32 v33, 0x400, v16
	s_nop 0
	v_addc_co_u32_e32 v35, vcc, 0, v35, vcc
	global_load_dword v62, v[34:35], off offset:2008
	global_load_dword v63, v[36:37], off offset:3600
	;; [unrolled: 1-line block ×4, first 2 shown]
	ds_read2_b32 v[36:37], v16 offset1:150
	v_add_u32_e32 v35, 0x800, v16
	v_add_u32_e32 v34, 0xe00, v16
	;; [unrolled: 1-line block ×4, first 2 shown]
	s_waitcnt lgkmcnt(0)
	v_lshrrev_b32_e32 v52, 16, v36
	v_lshrrev_b32_e32 v53, 16, v37
	v_add_u32_e32 v68, 0x600, v16
	v_add_u32_e32 v69, 0xb00, v16
	s_movk_i32 s8, 0x3b9c
	s_movk_i32 s9, 0x38b4
	s_mov_b32 s11, 0xffff
	s_movk_i32 s10, 0x34f2
	s_mov_b32 s12, 0xbb9c
	;; [unrolled: 2-line block ×3, first 2 shown]
	s_mov_b32 s15, 0xba79
	s_waitcnt vmcnt(9)
	v_mul_f16_sdwa v56, v52, v54 dst_sel:DWORD dst_unused:UNUSED_PAD src0_sel:DWORD src1_sel:WORD_1
	v_mul_f16_sdwa v57, v36, v54 dst_sel:DWORD dst_unused:UNUSED_PAD src0_sel:DWORD src1_sel:WORD_1
	v_fma_f16 v36, v36, v54, -v56
	v_fma_f16 v52, v52, v54, v57
	s_waitcnt vmcnt(6)
	v_mul_f16_sdwa v70, v53, v55 dst_sel:DWORD dst_unused:UNUSED_PAD src0_sel:DWORD src1_sel:WORD_1
	v_mul_f16_sdwa v71, v37, v55 dst_sel:DWORD dst_unused:UNUSED_PAD src0_sel:DWORD src1_sel:WORD_1
	v_pack_b32_f16 v36, v36, v52
	v_fma_f16 v54, v37, v55, -v70
	v_fma_f16 v53, v53, v55, v71
	ds_write_b32 v16, v36
	ds_read2_b32 v[36:37], v33 offset0:44 offset1:194
	v_pack_b32_f16 v70, v54, v53
	ds_read2_b32 v[52:53], v35 offset0:88 offset1:238
	ds_read2_b32 v[54:55], v34 offset0:4 offset1:154
	ds_read2_b32 v[56:57], v66 offset0:48 offset1:198
	s_waitcnt lgkmcnt(3)
	v_lshrrev_b32_e32 v71, 16, v36
	s_waitcnt vmcnt(5)
	v_mul_f16_sdwa v72, v36, v60 dst_sel:DWORD dst_unused:UNUSED_PAD src0_sel:DWORD src1_sel:WORD_1
	s_waitcnt lgkmcnt(2)
	v_lshrrev_b32_e32 v73, 16, v52
	s_waitcnt vmcnt(4)
	v_mul_f16_sdwa v74, v52, v61 dst_sel:DWORD dst_unused:UNUSED_PAD src0_sel:DWORD src1_sel:WORD_1
	s_waitcnt lgkmcnt(1)
	v_lshrrev_b32_e32 v75, 16, v54
	s_waitcnt vmcnt(2)
	v_mul_f16_sdwa v76, v54, v63 dst_sel:DWORD dst_unused:UNUSED_PAD src0_sel:DWORD src1_sel:WORD_1
	s_waitcnt lgkmcnt(0)
	v_lshrrev_b32_e32 v77, 16, v56
	s_waitcnt vmcnt(1)
	v_mul_f16_sdwa v78, v56, v64 dst_sel:DWORD dst_unused:UNUSED_PAD src0_sel:DWORD src1_sel:WORD_1
	v_lshrrev_b32_e32 v79, 16, v37
	v_mul_f16_sdwa v80, v37, v59 dst_sel:DWORD dst_unused:UNUSED_PAD src0_sel:DWORD src1_sel:WORD_1
	v_lshrrev_b32_e32 v81, 16, v53
	v_mul_f16_sdwa v82, v53, v58 dst_sel:DWORD dst_unused:UNUSED_PAD src0_sel:DWORD src1_sel:WORD_1
	;; [unrolled: 2-line block ×3, first 2 shown]
	v_fma_f16 v71, v71, v60, v72
	v_mul_f16_sdwa v72, v73, v61 dst_sel:DWORD dst_unused:UNUSED_PAD src0_sel:DWORD src1_sel:WORD_1
	v_fma_f16 v73, v73, v61, v74
	v_mul_f16_sdwa v74, v75, v63 dst_sel:DWORD dst_unused:UNUSED_PAD src0_sel:DWORD src1_sel:WORD_1
	;; [unrolled: 2-line block ×4, first 2 shown]
	v_mul_f16_sdwa v84, v55, v62 dst_sel:DWORD dst_unused:UNUSED_PAD src0_sel:DWORD src1_sel:WORD_1
	v_fma_f16 v79, v79, v59, v80
	v_mul_f16_sdwa v80, v81, v58 dst_sel:DWORD dst_unused:UNUSED_PAD src0_sel:DWORD src1_sel:WORD_1
	v_fma_f16 v81, v81, v58, v82
	v_mul_f16_sdwa v82, v83, v62 dst_sel:DWORD dst_unused:UNUSED_PAD src0_sel:DWORD src1_sel:WORD_1
	v_fma_f16 v36, v36, v60, -v85
	v_fma_f16 v37, v37, v59, -v78
	v_fma_f16 v83, v83, v62, v84
	v_fma_f16 v52, v52, v61, -v72
	v_fma_f16 v54, v54, v63, -v74
	;; [unrolled: 1-line block ×5, first 2 shown]
	v_pack_b32_f16 v36, v36, v71
	v_pack_b32_f16 v37, v37, v79
	;; [unrolled: 1-line block ×6, first 2 shown]
	ds_write2_b32 v67, v70, v36 offset0:22 offset1:172
	ds_write2_b32 v68, v37, v52 offset0:66 offset1:216
	ds_write2_b32 v69, v53, v54 offset0:46 offset1:196
	v_pack_b32_f16 v36, v55, v83
	v_add_u32_e32 v37, 0x1000, v16
	ds_write2_b32 v37, v36, v56 offset0:26 offset1:176
	v_lshrrev_b32_e32 v36, 16, v57
	s_waitcnt vmcnt(0)
	v_mul_f16_sdwa v37, v36, v65 dst_sel:DWORD dst_unused:UNUSED_PAD src0_sel:DWORD src1_sel:WORD_1
	v_mul_f16_sdwa v52, v57, v65 dst_sel:DWORD dst_unused:UNUSED_PAD src0_sel:DWORD src1_sel:WORD_1
	v_fma_f16 v37, v57, v65, -v37
	v_fma_f16 v36, v36, v65, v52
	v_pack_b32_f16 v36, v37, v36
	ds_write_b32 v16, v36 offset:5400
	s_waitcnt lgkmcnt(0)
	s_barrier
	ds_read2_b32 v[36:37], v33 offset0:44 offset1:194
	ds_read2_b32 v[52:53], v35 offset0:88 offset1:238
	ds_read2_b32 v[54:55], v34 offset0:4 offset1:154
	ds_read2_b32 v[56:57], v66 offset0:48 offset1:198
	ds_read2_b32 v[58:59], v16 offset1:150
	s_waitcnt lgkmcnt(0)
	v_pk_add_f16 v67, v37, v53 neg_lo:[0,1] neg_hi:[0,1]
	v_pk_add_f16 v60, v53, v55 neg_lo:[0,1] neg_hi:[0,1]
	;; [unrolled: 1-line block ×3, first 2 shown]
	v_pk_add_f16 v62, v37, v57
	v_pk_add_f16 v68, v53, v37 neg_lo:[0,1] neg_hi:[0,1]
	v_pk_add_f16 v37, v59, v37
	v_pk_add_f16 v63, v53, v55
	v_pk_fma_f16 v62, v62, 0.5, v59 op_sel_hi:[1,0,1] neg_lo:[1,0,0] neg_hi:[1,0,0]
	v_pk_mul_f16 v65, v60, s8 op_sel_hi:[1,0]
	v_pk_add_f16 v37, v37, v53
	v_pk_fma_f16 v63, v63, 0.5, v59 op_sel_hi:[1,0,1] neg_lo:[1,0,0] neg_hi:[1,0,0]
	v_pk_mul_f16 v64, v61, s8 op_sel_hi:[1,0]
	v_pk_mul_f16 v61, v61, s9 op_sel_hi:[1,0]
	v_pk_add_f16 v69, v57, v55 neg_lo:[0,1] neg_hi:[0,1]
	v_pk_add_f16 v70, v55, v57 neg_lo:[0,1] neg_hi:[0,1]
	v_pk_add_f16 v37, v37, v55
	v_pk_add_f16 v53, v62, v65 op_sel:[0,1] op_sel_hi:[1,0] neg_lo:[0,1] neg_hi:[0,1]
	v_pk_add_f16 v55, v62, v65 op_sel:[0,1] op_sel_hi:[1,0]
	v_pk_add_f16 v53, v53, v61 op_sel:[0,1] op_sel_hi:[1,0]
	v_pk_add_f16 v55, v55, v61 op_sel:[0,1] op_sel_hi:[1,0] neg_lo:[0,1] neg_hi:[0,1]
	v_pk_add_f16 v59, v63, v64 op_sel:[0,1] op_sel_hi:[1,0]
	v_pk_add_f16 v61, v63, v64 op_sel:[0,1] op_sel_hi:[1,0] neg_lo:[0,1] neg_hi:[0,1]
	v_pk_add_f16 v62, v52, v54 neg_lo:[0,1] neg_hi:[0,1]
	v_pk_add_f16 v63, v36, v56 neg_lo:[0,1] neg_hi:[0,1]
	v_pk_add_f16 v64, v36, v56
	v_pk_add_f16 v71, v36, v52 neg_lo:[0,1] neg_hi:[0,1]
	v_pk_add_f16 v72, v52, v36 neg_lo:[0,1] neg_hi:[0,1]
	v_pk_add_f16 v36, v58, v36
	v_pk_add_f16 v68, v68, v70
	;; [unrolled: 1-line block ×3, first 2 shown]
	v_pk_fma_f16 v64, v64, 0.5, v58 op_sel_hi:[1,0,1] neg_lo:[1,0,0] neg_hi:[1,0,0]
	v_pk_mul_f16 v70, v62, s8 op_sel_hi:[1,0]
	v_pk_add_f16 v36, v36, v52
	v_pk_add_f16 v67, v67, v69
	v_pk_fma_f16 v65, v65, 0.5, v58 op_sel_hi:[1,0,1] neg_lo:[1,0,0] neg_hi:[1,0,0]
	v_pk_mul_f16 v69, v63, s8 op_sel_hi:[1,0]
	v_pk_mul_f16 v63, v63, s9 op_sel_hi:[1,0]
	v_pk_add_f16 v73, v56, v54 neg_lo:[0,1] neg_hi:[0,1]
	v_pk_add_f16 v74, v54, v56 neg_lo:[0,1] neg_hi:[0,1]
	v_pk_add_f16 v36, v36, v54
	v_pk_add_f16 v52, v64, v70 op_sel:[0,1] op_sel_hi:[1,0] neg_lo:[0,1] neg_hi:[0,1]
	v_pk_add_f16 v54, v64, v70 op_sel:[0,1] op_sel_hi:[1,0]
	v_pk_mul_f16 v62, v62, s9 op_sel_hi:[1,0]
	v_pk_add_f16 v54, v54, v63 op_sel:[0,1] op_sel_hi:[1,0] neg_lo:[0,1] neg_hi:[0,1]
	v_pk_add_f16 v52, v52, v63 op_sel:[0,1] op_sel_hi:[1,0]
	v_pk_add_f16 v58, v65, v69 op_sel:[0,1] op_sel_hi:[1,0]
	v_pk_add_f16 v63, v65, v69 op_sel:[0,1] op_sel_hi:[1,0] neg_lo:[0,1] neg_hi:[0,1]
	v_pk_add_f16 v58, v58, v62 op_sel:[0,1] op_sel_hi:[1,0]
	v_pk_add_f16 v62, v63, v62 op_sel:[0,1] op_sel_hi:[1,0] neg_lo:[0,1] neg_hi:[0,1]
	v_pk_add_f16 v71, v71, v73
	v_bfi_b32 v63, s11, v58, v62
	v_bfi_b32 v58, s11, v62, v58
	v_pk_add_f16 v36, v36, v56
	v_pk_fma_f16 v58, v71, s10, v58 op_sel_hi:[1,0,1]
	v_pk_mul_f16 v60, v60, s9 op_sel_hi:[1,0]
	v_pk_add_f16 v72, v72, v74
	s_barrier
	ds_write2_b32 v46, v36, v58 offset1:1
	v_bfi_b32 v36, s11, v54, v52
	v_pk_add_f16 v59, v59, v60 op_sel:[0,1] op_sel_hi:[1,0]
	v_pk_add_f16 v60, v61, v60 op_sel:[0,1] op_sel_hi:[1,0] neg_lo:[0,1] neg_hi:[0,1]
	v_bfi_b32 v56, s11, v52, v54
	v_pk_fma_f16 v36, v72, s10, v36 op_sel_hi:[1,0,1]
	v_pk_fma_f16 v63, v71, s10, v63 op_sel_hi:[1,0,1]
	v_pk_fma_f16 v56, v72, s10, v56 op_sel_hi:[1,0,1]
	ds_write_b32 v46, v36 offset:8
	ds_write2_b32 v46, v56, v63 offset0:3 offset1:4
	v_bfi_b32 v36, s11, v60, v59
	v_pk_add_f16 v37, v37, v57
	v_pk_fma_f16 v36, v67, s10, v36 op_sel_hi:[1,0,1]
	ds_write2_b32 v47, v37, v36 offset1:1
	v_bfi_b32 v36, s11, v55, v53
	v_bfi_b32 v57, s11, v53, v55
	;; [unrolled: 1-line block ×3, first 2 shown]
	v_pk_fma_f16 v36, v68, s10, v36 op_sel_hi:[1,0,1]
	v_pk_fma_f16 v61, v67, s10, v61 op_sel_hi:[1,0,1]
	;; [unrolled: 1-line block ×3, first 2 shown]
	ds_write_b32 v47, v36 offset:8
	ds_write2_b32 v47, v57, v61 offset0:3 offset1:4
	s_waitcnt lgkmcnt(0)
	s_barrier
	ds_read2_b32 v[36:37], v16 offset1:150
	ds_read2_b32 v[46:47], v33 offset0:44 offset1:194
	ds_read2_b32 v[52:53], v35 offset0:88 offset1:238
	;; [unrolled: 1-line block ×4, first 2 shown]
	s_waitcnt lgkmcnt(4)
	v_lshrrev_b32_e32 v59, 16, v37
	v_mul_f16_sdwa v69, v0, v59 dst_sel:DWORD dst_unused:UNUSED_PAD src0_sel:WORD_1 src1_sel:DWORD
	s_waitcnt lgkmcnt(3)
	v_lshrrev_b32_e32 v60, 16, v46
	v_fma_f16 v69, v0, v37, v69
	v_mul_f16_sdwa v37, v0, v37 dst_sel:DWORD dst_unused:UNUSED_PAD src0_sel:WORD_1 src1_sel:DWORD
	v_fma_f16 v0, v0, v59, -v37
	v_mul_f16_sdwa v37, v1, v60 dst_sel:DWORD dst_unused:UNUSED_PAD src0_sel:WORD_1 src1_sel:DWORD
	v_lshrrev_b32_e32 v61, 16, v47
	v_fma_f16 v37, v1, v46, v37
	v_mul_f16_sdwa v46, v1, v46 dst_sel:DWORD dst_unused:UNUSED_PAD src0_sel:WORD_1 src1_sel:DWORD
	v_fma_f16 v1, v1, v60, -v46
	v_mul_f16_sdwa v46, v2, v61 dst_sel:DWORD dst_unused:UNUSED_PAD src0_sel:WORD_1 src1_sel:DWORD
	s_waitcnt lgkmcnt(2)
	v_lshrrev_b32_e32 v62, 16, v52
	v_fma_f16 v46, v2, v47, v46
	v_mul_f16_sdwa v47, v2, v47 dst_sel:DWORD dst_unused:UNUSED_PAD src0_sel:WORD_1 src1_sel:DWORD
	v_fma_f16 v2, v2, v61, -v47
	v_mul_f16_sdwa v47, v3, v62 dst_sel:DWORD dst_unused:UNUSED_PAD src0_sel:WORD_1 src1_sel:DWORD
	v_lshrrev_b32_e32 v63, 16, v53
	v_fma_f16 v47, v3, v52, v47
	v_mul_f16_sdwa v52, v3, v52 dst_sel:DWORD dst_unused:UNUSED_PAD src0_sel:WORD_1 src1_sel:DWORD
	v_fma_f16 v3, v3, v62, -v52
	;; [unrolled: 11-line block ×3, first 2 shown]
	v_mul_f16_sdwa v54, v6, v65 dst_sel:DWORD dst_unused:UNUSED_PAD src0_sel:WORD_1 src1_sel:DWORD
	s_waitcnt lgkmcnt(0)
	v_lshrrev_b32_e32 v67, 16, v56
	v_fma_f16 v54, v6, v55, v54
	v_mul_f16_sdwa v55, v6, v55 dst_sel:DWORD dst_unused:UNUSED_PAD src0_sel:WORD_1 src1_sel:DWORD
	v_fma_f16 v6, v6, v65, -v55
	v_mul_f16_sdwa v55, v7, v67 dst_sel:DWORD dst_unused:UNUSED_PAD src0_sel:WORD_1 src1_sel:DWORD
	v_fma_f16 v55, v7, v56, v55
	v_mul_f16_sdwa v56, v7, v56 dst_sel:DWORD dst_unused:UNUSED_PAD src0_sel:WORD_1 src1_sel:DWORD
	v_fma_f16 v7, v7, v67, -v56
	v_add_f16_e32 v59, v47, v53
	v_fma_f16 v59, v59, -0.5, v36
	v_sub_f16_e32 v60, v1, v7
	v_lshrrev_b32_e32 v68, 16, v57
	v_fma_f16 v61, v60, s12, v59
	v_sub_f16_e32 v62, v3, v5
	s_mov_b32 s11, 0xb8b4
	v_sub_f16_e32 v63, v37, v47
	v_sub_f16_e32 v64, v55, v53
	v_fma_f16 v59, v60, s8, v59
	v_mul_f16_sdwa v56, v48, v68 dst_sel:DWORD dst_unused:UNUSED_PAD src0_sel:WORD_1 src1_sel:DWORD
	v_fma_f16 v61, v62, s11, v61
	v_add_f16_e32 v63, v63, v64
	v_fma_f16 v59, v62, s9, v59
	v_fma_f16 v56, v48, v57, v56
	v_mul_f16_sdwa v57, v48, v57 dst_sel:DWORD dst_unused:UNUSED_PAD src0_sel:WORD_1 src1_sel:DWORD
	v_fma_f16 v61, v63, s10, v61
	v_fma_f16 v59, v63, s10, v59
	v_add_f16_e32 v63, v37, v55
	v_lshrrev_b32_e32 v58, 16, v36
	v_fma_f16 v48, v48, v68, -v57
	v_add_f16_e32 v57, v36, v37
	v_fma_f16 v36, v63, -0.5, v36
	v_add_f16_e32 v57, v57, v47
	v_fma_f16 v63, v62, s8, v36
	v_fma_f16 v36, v62, s12, v36
	v_add_f16_e32 v62, v3, v5
	v_add_f16_e32 v57, v57, v53
	v_sub_f16_e32 v64, v47, v37
	v_sub_f16_e32 v65, v53, v55
	v_fma_f16 v62, v62, -0.5, v58
	v_sub_f16_e32 v37, v37, v55
	v_add_f16_e32 v57, v57, v55
	v_fma_f16 v63, v60, s11, v63
	v_add_f16_e32 v64, v64, v65
	v_fma_f16 v36, v60, s9, v36
	v_fma_f16 v55, v37, s8, v62
	v_sub_f16_e32 v47, v47, v53
	v_fma_f16 v63, v64, s10, v63
	v_fma_f16 v36, v64, s10, v36
	;; [unrolled: 1-line block ×3, first 2 shown]
	v_sub_f16_e32 v55, v1, v3
	v_sub_f16_e32 v64, v7, v5
	v_fma_f16 v62, v37, s12, v62
	v_add_f16_e32 v60, v58, v1
	v_add_f16_e32 v55, v55, v64
	v_fma_f16 v62, v47, s11, v62
	v_add_f16_e32 v60, v60, v3
	v_fma_f16 v53, v55, s10, v53
	v_fma_f16 v55, v55, s10, v62
	v_add_f16_e32 v62, v1, v7
	v_add_f16_e32 v60, v60, v5
	v_fma_f16 v58, v62, -0.5, v58
	v_add_f16_e32 v60, v60, v7
	v_fma_f16 v62, v47, s12, v58
	v_sub_f16_e32 v1, v3, v1
	v_sub_f16_e32 v3, v5, v7
	v_fma_f16 v5, v47, s8, v58
	v_add_f16_e32 v7, v52, v54
	v_fma_f16 v62, v37, s9, v62
	v_add_f16_e32 v1, v1, v3
	v_fma_f16 v5, v37, s11, v5
	v_fma_f16 v7, v7, -0.5, v69
	v_sub_f16_e32 v37, v2, v48
	v_fma_f16 v3, v1, s10, v62
	v_fma_f16 v47, v37, s12, v7
	v_sub_f16_e32 v58, v4, v6
	v_sub_f16_e32 v62, v46, v52
	v_sub_f16_e32 v64, v56, v54
	v_fma_f16 v7, v37, s8, v7
	v_fma_f16 v47, v58, s11, v47
	v_add_f16_e32 v62, v62, v64
	v_fma_f16 v7, v58, s9, v7
	v_fma_f16 v47, v62, s10, v47
	;; [unrolled: 1-line block ×3, first 2 shown]
	v_add_f16_e32 v62, v46, v56
	v_fma_f16 v1, v1, s10, v5
	v_add_f16_e32 v5, v69, v46
	v_fma_f16 v62, v62, -0.5, v69
	v_add_f16_e32 v5, v5, v52
	v_fma_f16 v64, v58, s8, v62
	v_fma_f16 v58, v58, s12, v62
	v_add_f16_e32 v62, v4, v6
	v_add_f16_e32 v5, v5, v54
	v_sub_f16_e32 v65, v52, v46
	v_sub_f16_e32 v67, v54, v56
	v_fma_f16 v62, v62, -0.5, v0
	v_sub_f16_e32 v46, v46, v56
	v_add_f16_e32 v5, v5, v56
	v_fma_f16 v64, v37, s11, v64
	v_add_f16_e32 v65, v65, v67
	v_fma_f16 v37, v37, s9, v58
	v_fma_f16 v56, v46, s8, v62
	v_sub_f16_e32 v52, v52, v54
	v_fma_f16 v64, v65, s10, v64
	v_fma_f16 v37, v65, s10, v37
	;; [unrolled: 1-line block ×3, first 2 shown]
	v_sub_f16_e32 v56, v2, v4
	v_sub_f16_e32 v65, v48, v6
	v_fma_f16 v62, v46, s12, v62
	v_add_f16_e32 v56, v56, v65
	v_fma_f16 v62, v52, s11, v62
	v_fma_f16 v54, v56, s10, v54
	;; [unrolled: 1-line block ×3, first 2 shown]
	v_add_f16_e32 v62, v2, v48
	v_add_f16_e32 v58, v0, v2
	v_fma_f16 v0, v62, -0.5, v0
	v_add_f16_e32 v58, v58, v4
	v_fma_f16 v62, v52, s12, v0
	v_sub_f16_e32 v2, v4, v2
	v_sub_f16_e32 v4, v6, v48
	v_fma_f16 v0, v52, s8, v0
	v_fma_f16 v62, v46, s9, v62
	v_add_f16_e32 v2, v2, v4
	v_fma_f16 v0, v46, s11, v0
	v_add_f16_e32 v58, v58, v6
	v_fma_f16 v4, v2, s10, v62
	v_fma_f16 v0, v2, s10, v0
	v_mul_f16_e32 v6, 0xb8b4, v54
	v_mul_f16_e32 v54, 0x3a79, v54
	v_add_f16_e32 v58, v58, v48
	v_fma_f16 v6, v47, s13, v6
	v_mul_f16_e32 v48, 0xbb9c, v4
	v_mul_f16_e32 v62, 0xbb9c, v0
	v_fma_f16 v47, v47, s9, v54
	v_mul_f16_e32 v4, 0x34f2, v4
	v_mul_f16_e32 v0, 0xb4f2, v0
	v_add_f16_e32 v2, v57, v5
	v_add_f16_e32 v46, v61, v6
	v_fma_f16 v48, v64, s10, v48
	v_fma_f16 v62, v37, s14, v62
	v_mul_f16_e32 v67, 0xb8b4, v56
	v_add_f16_e32 v69, v60, v58
	v_add_f16_e32 v54, v53, v47
	v_fma_f16 v4, v64, s8, v4
	v_fma_f16 v0, v37, s8, v0
	v_mul_f16_e32 v56, 0xba79, v56
	v_add_f16_e32 v52, v63, v48
	v_add_f16_e32 v65, v36, v62
	v_fma_f16 v67, v7, s15, v67
	v_add_f16_e32 v64, v3, v4
	v_add_f16_e32 v37, v1, v0
	v_fma_f16 v7, v7, s9, v56
	v_sub_f16_e32 v3, v3, v4
	v_pack_b32_f16 v2, v2, v69
	v_pack_b32_f16 v4, v46, v54
	v_add_f16_e32 v68, v59, v67
	v_add_f16_e32 v56, v55, v7
	v_sub_f16_e32 v5, v57, v5
	v_sub_f16_e32 v58, v60, v58
	s_barrier
	ds_write2_b32 v49, v2, v4 offset1:5
	v_pack_b32_f16 v2, v52, v64
	v_pack_b32_f16 v4, v65, v37
	v_sub_f16_e32 v6, v61, v6
	v_sub_f16_e32 v48, v63, v48
	;; [unrolled: 1-line block ×7, first 2 shown]
	ds_write2_b32 v49, v2, v4 offset0:10 offset1:15
	v_pack_b32_f16 v2, v68, v56
	v_pack_b32_f16 v4, v5, v58
	ds_write2_b32 v49, v2, v4 offset0:20 offset1:25
	v_pack_b32_f16 v2, v6, v47
	v_pack_b32_f16 v3, v48, v3
	;; [unrolled: 1-line block ×4, first 2 shown]
	ds_write2_b32 v49, v2, v3 offset0:30 offset1:35
	ds_write2_b32 v49, v0, v1 offset0:40 offset1:45
	s_waitcnt lgkmcnt(0)
	s_barrier
	ds_read2_b32 v[0:1], v16 offset1:150
	ds_read2_b32 v[2:3], v33 offset0:44 offset1:194
	ds_read2_b32 v[4:5], v35 offset0:88 offset1:238
	;; [unrolled: 1-line block ×4, first 2 shown]
	s_waitcnt lgkmcnt(4)
	v_lshrrev_b32_e32 v47, 16, v1
	v_mul_f16_sdwa v57, v8, v47 dst_sel:DWORD dst_unused:UNUSED_PAD src0_sel:WORD_1 src1_sel:DWORD
	s_waitcnt lgkmcnt(3)
	v_lshrrev_b32_e32 v35, 16, v2
	v_fma_f16 v57, v8, v1, v57
	v_mul_f16_sdwa v1, v8, v1 dst_sel:DWORD dst_unused:UNUSED_PAD src0_sel:WORD_1 src1_sel:DWORD
	v_fma_f16 v1, v8, v47, -v1
	v_mul_f16_sdwa v8, v9, v35 dst_sel:DWORD dst_unused:UNUSED_PAD src0_sel:WORD_1 src1_sel:DWORD
	v_lshrrev_b32_e32 v48, 16, v3
	v_fma_f16 v8, v9, v2, v8
	v_mul_f16_sdwa v2, v9, v2 dst_sel:DWORD dst_unused:UNUSED_PAD src0_sel:WORD_1 src1_sel:DWORD
	v_fma_f16 v2, v9, v35, -v2
	v_mul_f16_sdwa v9, v10, v48 dst_sel:DWORD dst_unused:UNUSED_PAD src0_sel:WORD_1 src1_sel:DWORD
	s_waitcnt lgkmcnt(2)
	v_lshrrev_b32_e32 v49, 16, v4
	v_fma_f16 v9, v10, v3, v9
	v_mul_f16_sdwa v3, v10, v3 dst_sel:DWORD dst_unused:UNUSED_PAD src0_sel:WORD_1 src1_sel:DWORD
	v_fma_f16 v3, v10, v48, -v3
	v_mul_f16_sdwa v10, v11, v49 dst_sel:DWORD dst_unused:UNUSED_PAD src0_sel:WORD_1 src1_sel:DWORD
	v_lshrrev_b32_e32 v52, 16, v5
	v_fma_f16 v10, v11, v4, v10
	v_mul_f16_sdwa v4, v11, v4 dst_sel:DWORD dst_unused:UNUSED_PAD src0_sel:WORD_1 src1_sel:DWORD
	v_fma_f16 v4, v11, v49, -v4
	;; [unrolled: 11-line block ×3, first 2 shown]
	v_mul_f16_sdwa v13, v14, v54 dst_sel:DWORD dst_unused:UNUSED_PAD src0_sel:WORD_1 src1_sel:DWORD
	s_waitcnt lgkmcnt(0)
	v_lshrrev_b32_e32 v55, 16, v36
	v_fma_f16 v13, v14, v7, v13
	v_mul_f16_sdwa v7, v14, v7 dst_sel:DWORD dst_unused:UNUSED_PAD src0_sel:WORD_1 src1_sel:DWORD
	v_fma_f16 v7, v14, v54, -v7
	v_mul_f16_sdwa v14, v15, v55 dst_sel:DWORD dst_unused:UNUSED_PAD src0_sel:WORD_1 src1_sel:DWORD
	v_mul_f16_sdwa v35, v15, v36 dst_sel:DWORD dst_unused:UNUSED_PAD src0_sel:WORD_1 src1_sel:DWORD
	v_lshrrev_b32_e32 v56, 16, v37
	v_fma_f16 v14, v15, v36, v14
	v_fma_f16 v15, v15, v55, -v35
	v_add_f16_e32 v47, v10, v12
	v_mul_f16_sdwa v35, v50, v56 dst_sel:DWORD dst_unused:UNUSED_PAD src0_sel:WORD_1 src1_sel:DWORD
	v_mul_f16_sdwa v36, v50, v37 dst_sel:DWORD dst_unused:UNUSED_PAD src0_sel:WORD_1 src1_sel:DWORD
	v_fma_f16 v47, v47, -0.5, v0
	v_sub_f16_e32 v48, v2, v15
	v_fma_f16 v35, v50, v37, v35
	v_fma_f16 v36, v50, v56, -v36
	v_fma_f16 v49, v48, s12, v47
	v_sub_f16_e32 v50, v4, v6
	v_sub_f16_e32 v52, v8, v10
	;; [unrolled: 1-line block ×3, first 2 shown]
	v_fma_f16 v47, v48, s8, v47
	v_fma_f16 v49, v50, s11, v49
	v_add_f16_e32 v52, v52, v53
	v_fma_f16 v47, v50, s9, v47
	v_fma_f16 v49, v52, s10, v49
	;; [unrolled: 1-line block ×3, first 2 shown]
	v_add_f16_e32 v52, v8, v14
	v_lshrrev_b32_e32 v46, 16, v0
	v_add_f16_e32 v37, v0, v8
	v_fma_f16 v0, v52, -0.5, v0
	v_add_f16_e32 v37, v37, v10
	v_fma_f16 v52, v50, s8, v0
	v_fma_f16 v0, v50, s12, v0
	v_add_f16_e32 v50, v4, v6
	v_add_f16_e32 v37, v37, v12
	v_sub_f16_e32 v53, v10, v8
	v_sub_f16_e32 v54, v12, v14
	v_fma_f16 v50, v50, -0.5, v46
	v_sub_f16_e32 v8, v8, v14
	v_add_f16_e32 v37, v37, v14
	v_fma_f16 v52, v48, s11, v52
	v_add_f16_e32 v53, v53, v54
	v_fma_f16 v0, v48, s9, v0
	v_fma_f16 v14, v8, s8, v50
	v_sub_f16_e32 v10, v10, v12
	v_fma_f16 v52, v53, s10, v52
	v_fma_f16 v0, v53, s10, v0
	;; [unrolled: 1-line block ×3, first 2 shown]
	v_sub_f16_e32 v14, v2, v4
	v_sub_f16_e32 v53, v15, v6
	v_fma_f16 v50, v8, s12, v50
	v_add_f16_e32 v14, v14, v53
	v_fma_f16 v50, v10, s11, v50
	v_add_f16_e32 v48, v46, v2
	v_fma_f16 v12, v14, s10, v12
	v_fma_f16 v14, v14, s10, v50
	v_add_f16_e32 v50, v2, v15
	v_add_f16_e32 v48, v48, v4
	v_fma_f16 v46, v50, -0.5, v46
	v_add_f16_e32 v48, v48, v6
	v_fma_f16 v50, v10, s12, v46
	v_sub_f16_e32 v2, v4, v2
	v_sub_f16_e32 v4, v6, v15
	v_fma_f16 v6, v10, s8, v46
	v_fma_f16 v50, v8, s9, v50
	;; [unrolled: 1-line block ×3, first 2 shown]
	v_add_f16_e32 v8, v11, v13
	v_add_f16_e32 v2, v2, v4
	v_fma_f16 v8, v8, -0.5, v57
	v_sub_f16_e32 v10, v3, v36
	v_add_f16_e32 v48, v48, v15
	v_fma_f16 v4, v2, s10, v50
	v_fma_f16 v15, v10, s12, v8
	v_sub_f16_e32 v46, v5, v7
	v_sub_f16_e32 v50, v9, v11
	;; [unrolled: 1-line block ×3, first 2 shown]
	v_fma_f16 v8, v10, s8, v8
	v_fma_f16 v15, v46, s11, v15
	v_add_f16_e32 v50, v50, v53
	v_fma_f16 v8, v46, s9, v8
	v_fma_f16 v15, v50, s10, v15
	;; [unrolled: 1-line block ×3, first 2 shown]
	v_add_f16_e32 v50, v9, v35
	v_fma_f16 v2, v2, s10, v6
	v_add_f16_e32 v6, v57, v9
	v_fma_f16 v50, v50, -0.5, v57
	v_add_f16_e32 v6, v6, v11
	v_fma_f16 v53, v46, s8, v50
	v_fma_f16 v46, v46, s12, v50
	v_add_f16_e32 v50, v5, v7
	v_add_f16_e32 v6, v6, v13
	v_sub_f16_e32 v54, v11, v9
	v_sub_f16_e32 v55, v13, v35
	v_fma_f16 v50, v50, -0.5, v1
	v_sub_f16_e32 v9, v9, v35
	v_add_f16_e32 v6, v6, v35
	v_fma_f16 v53, v10, s11, v53
	v_add_f16_e32 v54, v54, v55
	v_fma_f16 v10, v10, s9, v46
	v_fma_f16 v35, v9, s8, v50
	v_sub_f16_e32 v11, v11, v13
	v_fma_f16 v53, v54, s10, v53
	v_fma_f16 v10, v54, s10, v10
	;; [unrolled: 1-line block ×3, first 2 shown]
	v_sub_f16_e32 v35, v3, v5
	v_sub_f16_e32 v54, v36, v7
	v_fma_f16 v50, v9, s12, v50
	v_add_f16_e32 v35, v35, v54
	v_fma_f16 v50, v11, s11, v50
	v_fma_f16 v13, v35, s10, v13
	;; [unrolled: 1-line block ×3, first 2 shown]
	v_add_f16_e32 v50, v3, v36
	v_add_f16_e32 v46, v1, v3
	v_fma_f16 v1, v50, -0.5, v1
	v_add_f16_e32 v46, v46, v5
	v_fma_f16 v50, v11, s12, v1
	v_sub_f16_e32 v3, v5, v3
	v_sub_f16_e32 v5, v7, v36
	v_fma_f16 v1, v11, s8, v1
	v_fma_f16 v50, v9, s9, v50
	v_add_f16_e32 v3, v3, v5
	v_fma_f16 v1, v9, s11, v1
	v_add_f16_e32 v46, v46, v7
	v_fma_f16 v5, v3, s10, v50
	v_fma_f16 v1, v3, s10, v1
	v_mul_f16_e32 v7, 0xb8b4, v13
	v_mul_f16_e32 v13, 0x3a79, v13
	v_add_f16_e32 v46, v46, v36
	v_fma_f16 v7, v15, s13, v7
	v_mul_f16_e32 v9, 0xbb9c, v5
	v_mul_f16_e32 v50, 0xbb9c, v1
	v_fma_f16 v13, v15, s9, v13
	v_mul_f16_e32 v5, 0x34f2, v5
	v_mul_f16_e32 v1, 0xb4f2, v1
	v_add_f16_e32 v3, v37, v6
	v_add_f16_e32 v11, v49, v7
	v_fma_f16 v9, v53, s10, v9
	v_fma_f16 v50, v10, s14, v50
	v_mul_f16_e32 v55, 0xb8b4, v35
	v_add_f16_e32 v57, v48, v46
	v_add_f16_e32 v15, v12, v13
	v_fma_f16 v5, v53, s8, v5
	v_fma_f16 v1, v10, s8, v1
	v_mul_f16_e32 v35, 0xba79, v35
	v_add_f16_e32 v36, v52, v9
	v_add_f16_e32 v54, v0, v50
	v_fma_f16 v55, v8, s15, v55
	v_add_f16_e32 v53, v4, v5
	v_add_f16_e32 v10, v2, v1
	v_fma_f16 v35, v8, s9, v35
	v_sub_f16_e32 v1, v2, v1
	v_pack_b32_f16 v2, v3, v57
	v_pack_b32_f16 v3, v11, v15
	v_add_f16_e32 v56, v47, v55
	v_add_f16_e32 v58, v14, v35
	v_sub_f16_e32 v6, v37, v6
	v_sub_f16_e32 v46, v48, v46
	s_barrier
	ds_write2_b32 v51, v2, v3 offset1:50
	v_pack_b32_f16 v2, v36, v53
	v_pack_b32_f16 v3, v54, v10
	v_sub_f16_e32 v7, v49, v7
	v_sub_f16_e32 v37, v52, v9
	;; [unrolled: 1-line block ×7, first 2 shown]
	ds_write2_b32 v51, v2, v3 offset0:100 offset1:150
	v_pack_b32_f16 v2, v56, v58
	v_pack_b32_f16 v3, v6, v46
	ds_write2_b32 v51, v2, v3 offset0:200 offset1:250
	v_pack_b32_f16 v2, v7, v12
	v_pack_b32_f16 v3, v37, v4
	v_add_u32_e32 v4, 0x400, v51
	v_pack_b32_f16 v0, v0, v1
	v_pack_b32_f16 v1, v8, v9
	ds_write2_b32 v4, v2, v3 offset0:44 offset1:94
	ds_write2_b32 v4, v0, v1 offset0:144 offset1:194
	s_waitcnt lgkmcnt(0)
	s_barrier
	ds_read2_b32 v[2:3], v16 offset1:150
	ds_read2_b32 v[0:1], v33 offset0:44 offset1:244
	ds_read2_b32 v[6:7], v34 offset0:104 offset1:254
	v_add_u32_e32 v10, 0xa00, v16
	ds_read2_b32 v[4:5], v10 offset0:10 offset1:160
	ds_read_b32 v11, v16 offset:5200
	s_and_saveexec_b64 s[8:9], s[0:1]
	s_cbranch_execz .LBB0_7
; %bb.6:
	ds_read_b32 v8, v16 offset:1800
	ds_read_b32 v19, v16 offset:3800
	;; [unrolled: 1-line block ×3, first 2 shown]
	s_waitcnt lgkmcnt(2)
	v_lshrrev_b32_e32 v9, 16, v8
	s_waitcnt lgkmcnt(1)
	v_lshrrev_b32_e32 v31, 16, v19
	;; [unrolled: 2-line block ×3, first 2 shown]
.LBB0_7:
	s_or_b64 exec, exec, s[8:9]
	s_waitcnt lgkmcnt(3)
	v_lshrrev_b32_e32 v13, 16, v1
	v_mul_f16_sdwa v46, v24, v13 dst_sel:DWORD dst_unused:UNUSED_PAD src0_sel:WORD_1 src1_sel:DWORD
	s_waitcnt lgkmcnt(2)
	v_lshrrev_b32_e32 v14, 16, v6
	v_fma_f16 v46, v24, v1, v46
	v_mul_f16_sdwa v1, v24, v1 dst_sel:DWORD dst_unused:UNUSED_PAD src0_sel:WORD_1 src1_sel:DWORD
	v_fma_f16 v1, v24, v13, -v1
	v_mul_f16_sdwa v13, v25, v14 dst_sel:DWORD dst_unused:UNUSED_PAD src0_sel:WORD_1 src1_sel:DWORD
	s_waitcnt lgkmcnt(1)
	v_lshrrev_b32_e32 v33, 16, v4
	v_lshrrev_b32_e32 v36, 16, v5
	v_fma_f16 v13, v25, v6, v13
	v_mul_f16_sdwa v6, v25, v6 dst_sel:DWORD dst_unused:UNUSED_PAD src0_sel:WORD_1 src1_sel:DWORD
	v_lshrrev_b32_e32 v34, 16, v7
	v_fma_f16 v6, v25, v14, -v6
	v_mul_f16_sdwa v14, v26, v33 dst_sel:DWORD dst_unused:UNUSED_PAD src0_sel:WORD_1 src1_sel:DWORD
	v_mul_f16_sdwa v25, v28, v36 dst_sel:DWORD dst_unused:UNUSED_PAD src0_sel:WORD_1 src1_sel:DWORD
	s_waitcnt lgkmcnt(0)
	v_lshrrev_b32_e32 v37, 16, v11
	v_fma_f16 v14, v26, v4, v14
	v_mul_f16_sdwa v4, v26, v4 dst_sel:DWORD dst_unused:UNUSED_PAD src0_sel:WORD_1 src1_sel:DWORD
	v_mul_f16_sdwa v24, v27, v34 dst_sel:DWORD dst_unused:UNUSED_PAD src0_sel:WORD_1 src1_sel:DWORD
	v_fma_f16 v25, v28, v5, v25
	v_mul_f16_sdwa v5, v28, v5 dst_sel:DWORD dst_unused:UNUSED_PAD src0_sel:WORD_1 src1_sel:DWORD
	v_fma_f16 v4, v26, v33, -v4
	v_fma_f16 v24, v27, v7, v24
	v_mul_f16_sdwa v7, v27, v7 dst_sel:DWORD dst_unused:UNUSED_PAD src0_sel:WORD_1 src1_sel:DWORD
	v_fma_f16 v5, v28, v36, -v5
	v_mul_f16_sdwa v26, v29, v37 dst_sel:DWORD dst_unused:UNUSED_PAD src0_sel:WORD_1 src1_sel:DWORD
	v_add_f16_e32 v28, v46, v13
	v_lshrrev_b32_e32 v12, 16, v2
	v_fma_f16 v7, v27, v34, -v7
	v_fma_f16 v26, v29, v11, v26
	v_mul_f16_sdwa v11, v29, v11 dst_sel:DWORD dst_unused:UNUSED_PAD src0_sel:WORD_1 src1_sel:DWORD
	v_add_f16_e32 v27, v2, v46
	v_fma_f16 v2, v28, -0.5, v2
	v_sub_f16_e32 v28, v1, v6
	s_mov_b32 s10, 0xbaee
	s_movk_i32 s11, 0x3aee
	v_fma_f16 v11, v29, v37, -v11
	v_fma_f16 v29, v28, s10, v2
	v_fma_f16 v2, v28, s11, v2
	v_add_f16_e32 v28, v12, v1
	v_add_f16_e32 v1, v1, v6
	;; [unrolled: 1-line block ×4, first 2 shown]
	v_fma_f16 v1, v1, -0.5, v12
	v_sub_f16_e32 v6, v46, v13
	v_add_f16_e32 v13, v14, v24
	v_lshrrev_b32_e32 v15, 16, v3
	v_fma_f16 v12, v6, s11, v1
	v_fma_f16 v1, v6, s10, v1
	v_add_f16_e32 v6, v3, v14
	v_fma_f16 v3, v13, -0.5, v3
	v_sub_f16_e32 v13, v4, v7
	v_fma_f16 v33, v13, s10, v3
	v_fma_f16 v3, v13, s11, v3
	v_add_f16_e32 v13, v15, v4
	v_add_f16_e32 v4, v4, v7
	;; [unrolled: 1-line block ×3, first 2 shown]
	v_fma_f16 v4, v4, -0.5, v15
	v_sub_f16_e32 v7, v14, v24
	v_add_f16_e32 v15, v25, v26
	v_lshrrev_b32_e32 v35, 16, v0
	v_fma_f16 v14, v7, s11, v4
	v_fma_f16 v4, v7, s10, v4
	v_add_f16_e32 v7, v0, v25
	v_fma_f16 v0, v15, -0.5, v0
	v_sub_f16_e32 v15, v5, v11
	v_add_f16_e32 v6, v6, v24
	v_fma_f16 v24, v15, s10, v0
	v_fma_f16 v0, v15, s11, v0
	v_add_f16_e32 v15, v35, v5
	v_add_f16_e32 v5, v5, v11
	;; [unrolled: 1-line block ×4, first 2 shown]
	v_fma_f16 v5, v5, -0.5, v35
	v_sub_f16_e32 v11, v25, v26
	v_pack_b32_f16 v1, v2, v1
	v_fma_f16 v25, v11, s11, v5
	v_fma_f16 v5, v11, s10, v5
	v_pack_b32_f16 v11, v27, v28
	v_pack_b32_f16 v12, v29, v12
	ds_write_b32 v16, v1 offset:4000
	v_pack_b32_f16 v1, v6, v13
	v_pack_b32_f16 v2, v3, v4
	;; [unrolled: 1-line block ×3, first 2 shown]
	ds_write_b32 v16, v12 offset:2000
	ds_write2_b32 v16, v11, v1 offset1:150
	v_pack_b32_f16 v1, v33, v14
	ds_write_b32 v16, v3 offset:1200
	v_pack_b32_f16 v3, v24, v25
	ds_write2_b32 v10, v1, v3 offset0:10 offset1:160
	v_pack_b32_f16 v0, v0, v5
	v_add_u32_e32 v1, 0x1100, v16
	ds_write2_b32 v1, v2, v0 offset0:62 offset1:212
	s_and_saveexec_b64 s[8:9], s[0:1]
	s_cbranch_execz .LBB0_9
; %bb.8:
	v_mul_f16_sdwa v0, v22, v19 dst_sel:DWORD dst_unused:UNUSED_PAD src0_sel:WORD_1 src1_sel:DWORD
	v_mul_f16_sdwa v1, v23, v30 dst_sel:DWORD dst_unused:UNUSED_PAD src0_sel:WORD_1 src1_sel:DWORD
	v_fma_f16 v0, v22, v31, -v0
	v_fma_f16 v1, v23, v32, -v1
	v_mul_f16_sdwa v3, v22, v31 dst_sel:DWORD dst_unused:UNUSED_PAD src0_sel:WORD_1 src1_sel:DWORD
	v_mul_f16_sdwa v4, v23, v32 dst_sel:DWORD dst_unused:UNUSED_PAD src0_sel:WORD_1 src1_sel:DWORD
	v_add_f16_e32 v2, v0, v1
	v_fma_f16 v3, v22, v19, v3
	v_fma_f16 v4, v23, v30, v4
	v_fma_f16 v2, v2, -0.5, v9
	v_sub_f16_e32 v5, v3, v4
	v_add_f16_e32 v7, v3, v4
	v_fma_f16 v6, v5, s10, v2
	v_fma_f16 v2, v5, s11, v2
	v_add_f16_e32 v5, v9, v0
	v_fma_f16 v7, v7, -0.5, v8
	v_sub_f16_e32 v0, v0, v1
	v_add_f16_e32 v5, v5, v1
	v_fma_f16 v1, v0, s11, v7
	v_fma_f16 v0, v0, s10, v7
	v_add_f16_e32 v3, v8, v3
	v_add_f16_e32 v3, v3, v4
	v_pack_b32_f16 v0, v0, v2
	v_pack_b32_f16 v3, v3, v5
	ds_write_b32 v16, v0 offset:3800
	v_pack_b32_f16 v0, v1, v6
	ds_write_b32 v16, v3 offset:1800
	ds_write_b32 v16, v0 offset:5800
.LBB0_9:
	s_or_b64 exec, exec, s[8:9]
	s_waitcnt lgkmcnt(0)
	s_barrier
	ds_read2_b32 v[0:1], v16 offset1:150
	v_mad_u64_u32 v[6:7], s[0:1], s6, v20, 0
	v_mov_b32_e32 v2, v7
	v_mov_b32_e32 v4, s2
	s_waitcnt lgkmcnt(0)
	v_lshrrev_b32_e32 v8, 16, v0
	v_mul_f16_sdwa v3, v45, v8 dst_sel:DWORD dst_unused:UNUSED_PAD src0_sel:WORD_1 src1_sel:DWORD
	v_fma_f16 v3, v45, v0, v3
	v_cvt_f32_f16_e32 v9, v3
	v_mov_b32_e32 v5, s3
	v_mad_u64_u32 v[2:3], s[0:1], s7, v20, v[2:3]
	s_mov_b32 s2, 0xc3ece2a5
	v_mov_b32_e32 v7, v2
	v_cvt_f64_f32_e32 v[2:3], v9
	s_mov_b32 s3, 0x3f45d867
	v_mul_f64 v[2:3], v[2:3], s[2:3]
	s_movk_i32 s6, 0x1ff
	v_and_or_b32 v2, v3, s6, v2
	v_cmp_ne_u32_e32 vcc, 0, v2
	v_lshrrev_b32_e32 v9, 8, v3
	s_movk_i32 s7, 0xffe
	v_cndmask_b32_e64 v2, 0, 1, vcc
	v_bfe_u32 v10, v3, 20, 11
	v_and_or_b32 v2, v9, s7, v2
	v_sub_u32_e32 v11, 0x3f1, v10
	v_or_b32_e32 v9, 0x1000, v2
	v_med3_i32 v11, v11, 0, 13
	v_lshrrev_b32_e32 v12, v11, v9
	v_lshlrev_b32_e32 v11, v11, v12
	v_cmp_ne_u32_e32 vcc, v11, v9
	v_add_u32_e32 v11, 0xfffffc10, v10
	v_lshl_or_b32 v10, v11, 12, v2
	v_cndmask_b32_e64 v9, 0, 1, vcc
	v_or_b32_e32 v9, v12, v9
	v_cmp_gt_i32_e32 vcc, 1, v11
	v_mul_f16_sdwa v0, v45, v0 dst_sel:DWORD dst_unused:UNUSED_PAD src0_sel:WORD_1 src1_sel:DWORD
	v_fma_f16 v0, v45, v8, -v0
	v_cndmask_b32_e32 v9, v10, v9, vcc
	v_and_b32_e32 v10, 7, v9
	v_cmp_lt_i32_e32 vcc, 5, v10
	v_cmp_eq_u32_e64 s[0:1], 3, v10
	v_lshrrev_b32_e32 v9, 2, v9
	s_or_b64 vcc, s[0:1], vcc
	v_addc_co_u32_e32 v9, vcc, 0, v9, vcc
	v_mov_b32_e32 v10, 0x7c00
	v_cmp_gt_i32_e32 vcc, 31, v11
	v_cvt_f32_f16_e32 v0, v0
	s_movk_i32 s8, 0x40f
	v_cndmask_b32_e32 v9, v10, v9, vcc
	v_cmp_ne_u32_e32 vcc, 0, v2
	s_mov_b32 s9, 0x8000
	v_and_b32_sdwa v14, v3, s9 dst_sel:DWORD dst_unused:UNUSED_PAD src0_sel:WORD_1 src1_sel:DWORD
	v_cndmask_b32_e64 v2, 0, 1, vcc
	v_lshl_or_b32 v2, v2, 9, v10
	v_cmp_eq_u32_e32 vcc, s8, v11
	s_mov_b32 s10, 0xffff
	v_lshl_add_u64 v[4:5], v[6:7], 2, v[4:5]
	v_cndmask_b32_e32 v11, v9, v2, vcc
	v_cvt_f64_f32_e32 v[2:3], v0
	v_mul_f64 v[2:3], v[2:3], s[2:3]
	v_and_or_b32 v0, v3, s6, v2
	v_cmp_ne_u32_e32 vcc, 0, v0
	v_lshrrev_b32_e32 v2, 8, v3
	v_bfe_u32 v8, v3, 20, 11
	v_cndmask_b32_e64 v0, 0, 1, vcc
	v_and_or_b32 v0, v2, s7, v0
	v_sub_u32_e32 v9, 0x3f1, v8
	v_or_b32_e32 v2, 0x1000, v0
	v_med3_i32 v9, v9, 0, 13
	v_lshrrev_b32_e32 v12, v9, v2
	v_lshlrev_b32_e32 v9, v9, v12
	v_cmp_ne_u32_e32 vcc, v9, v2
	v_add_u32_e32 v8, 0xfffffc10, v8
	v_lshl_or_b32 v9, v8, 12, v0
	v_cndmask_b32_e64 v2, 0, 1, vcc
	v_or_b32_e32 v2, v12, v2
	v_cmp_gt_i32_e32 vcc, 1, v8
	s_mul_i32 s11, s5, 0x4b0
	s_nop 0
	v_cndmask_b32_e32 v2, v9, v2, vcc
	v_and_b32_e32 v9, 7, v2
	v_cmp_lt_i32_e32 vcc, 5, v9
	v_cmp_eq_u32_e64 s[0:1], 3, v9
	v_lshrrev_b32_e32 v2, 2, v2
	s_or_b64 vcc, s[0:1], vcc
	v_addc_co_u32_e32 v2, vcc, 0, v2, vcc
	v_cmp_gt_i32_e32 vcc, 31, v8
	s_nop 1
	v_cndmask_b32_e32 v2, v10, v2, vcc
	v_cmp_ne_u32_e32 vcc, 0, v0
	s_nop 1
	v_cndmask_b32_e64 v0, 0, 1, vcc
	v_lshl_or_b32 v0, v0, 9, v10
	v_cmp_eq_u32_e32 vcc, s8, v8
	v_mad_u64_u32 v[8:9], s[0:1], s4, v18, 0
	s_nop 0
	v_cndmask_b32_e32 v0, v2, v0, vcc
	v_lshrrev_b32_e32 v2, 16, v3
	v_and_or_b32 v15, v2, s9, v0
	v_mov_b32_e32 v0, v9
	v_mad_u64_u32 v[12:13], s[0:1], s5, v18, v[0:1]
	v_add_u32_e32 v0, 0x400, v16
	ds_read2_b32 v[2:3], v0 offset0:44 offset1:194
	v_bitop3_b32 v0, v14, s10, v11 bitop3:0xc8
	v_mov_b32_e32 v9, v12
	v_lshl_add_u64 v[6:7], v[8:9], 2, v[4:5]
	v_lshl_or_b32 v0, v15, 16, v0
	s_waitcnt lgkmcnt(0)
	v_lshrrev_b32_e32 v11, 16, v2
	v_mul_f16_sdwa v12, v44, v11 dst_sel:DWORD dst_unused:UNUSED_PAD src0_sel:WORD_1 src1_sel:DWORD
	v_fma_f16 v12, v44, v2, v12
	v_cvt_f32_f16_e32 v12, v12
	global_store_dword v[6:7], v0, off
	v_mul_f16_sdwa v2, v44, v2 dst_sel:DWORD dst_unused:UNUSED_PAD src0_sel:WORD_1 src1_sel:DWORD
	v_fma_f16 v2, v44, v11, -v2
	v_cvt_f64_f32_e32 v[4:5], v12
	v_mul_f64 v[4:5], v[4:5], s[2:3]
	v_and_or_b32 v0, v5, s6, v4
	v_cmp_ne_u32_e32 vcc, 0, v0
	v_lshrrev_b32_e32 v4, 8, v5
	v_bfe_u32 v8, v5, 20, 11
	v_cndmask_b32_e64 v0, 0, 1, vcc
	v_and_or_b32 v0, v4, s7, v0
	v_sub_u32_e32 v9, 0x3f1, v8
	v_or_b32_e32 v4, 0x1000, v0
	v_med3_i32 v9, v9, 0, 13
	v_lshrrev_b32_e32 v12, v9, v4
	v_lshlrev_b32_e32 v9, v9, v12
	v_cmp_ne_u32_e32 vcc, v9, v4
	v_add_u32_e32 v8, 0xfffffc10, v8
	v_lshl_or_b32 v9, v8, 12, v0
	v_cndmask_b32_e64 v4, 0, 1, vcc
	v_or_b32_e32 v4, v12, v4
	v_cmp_gt_i32_e32 vcc, 1, v8
	v_cvt_f32_f16_e32 v2, v2
	s_nop 0
	v_cndmask_b32_e32 v4, v9, v4, vcc
	v_and_b32_e32 v9, 7, v4
	v_cmp_lt_i32_e32 vcc, 5, v9
	v_cmp_eq_u32_e64 s[0:1], 3, v9
	v_lshrrev_b32_e32 v4, 2, v4
	s_or_b64 vcc, s[0:1], vcc
	v_addc_co_u32_e32 v4, vcc, 0, v4, vcc
	v_cmp_gt_i32_e32 vcc, 31, v8
	s_nop 1
	v_cndmask_b32_e32 v4, v10, v4, vcc
	v_cmp_ne_u32_e32 vcc, 0, v0
	s_nop 1
	v_cndmask_b32_e64 v0, 0, 1, vcc
	v_lshl_or_b32 v0, v0, 9, v10
	v_cmp_eq_u32_e32 vcc, s8, v8
	v_and_b32_sdwa v8, v5, s9 dst_sel:DWORD dst_unused:UNUSED_PAD src0_sel:WORD_1 src1_sel:DWORD
	s_nop 0
	v_cndmask_b32_e32 v0, v4, v0, vcc
	v_cvt_f64_f32_e32 v[4:5], v2
	v_mul_f64 v[4:5], v[4:5], s[2:3]
	v_and_or_b32 v2, v5, s6, v4
	v_cmp_ne_u32_e32 vcc, 0, v2
	v_lshrrev_b32_e32 v4, 8, v5
	v_bfe_u32 v9, v5, 20, 11
	v_cndmask_b32_e64 v2, 0, 1, vcc
	v_and_or_b32 v2, v4, s7, v2
	v_sub_u32_e32 v11, 0x3f1, v9
	v_or_b32_e32 v4, 0x1000, v2
	v_med3_i32 v11, v11, 0, 13
	v_lshrrev_b32_e32 v12, v11, v4
	v_lshlrev_b32_e32 v11, v11, v12
	v_cmp_ne_u32_e32 vcc, v11, v4
	v_add_u32_e32 v9, 0xfffffc10, v9
	v_lshl_or_b32 v11, v9, 12, v2
	v_cndmask_b32_e64 v4, 0, 1, vcc
	v_or_b32_e32 v4, v12, v4
	v_cmp_gt_i32_e32 vcc, 1, v9
	v_bitop3_b32 v0, v8, s10, v0 bitop3:0xc8
	s_nop 0
	v_cndmask_b32_e32 v4, v11, v4, vcc
	v_and_b32_e32 v11, 7, v4
	v_cmp_lt_i32_e32 vcc, 5, v11
	v_cmp_eq_u32_e64 s[0:1], 3, v11
	v_lshrrev_b32_e32 v4, 2, v4
	s_or_b64 vcc, s[0:1], vcc
	v_addc_co_u32_e32 v4, vcc, 0, v4, vcc
	v_cmp_gt_i32_e32 vcc, 31, v9
	s_nop 1
	v_cndmask_b32_e32 v4, v10, v4, vcc
	v_cmp_ne_u32_e32 vcc, 0, v2
	s_nop 1
	v_cndmask_b32_e64 v2, 0, 1, vcc
	v_lshl_or_b32 v2, v2, 9, v10
	v_cmp_eq_u32_e32 vcc, s8, v9
	s_nop 1
	v_cndmask_b32_e32 v2, v4, v2, vcc
	v_lshrrev_b32_e32 v4, 16, v5
	v_and_or_b32 v2, v4, s9, v2
	v_add_u32_e32 v4, 0x800, v16
	ds_read2_b32 v[4:5], v4 offset0:88 offset1:238
	v_lshl_or_b32 v2, v2, 16, v0
	v_mov_b32_e32 v0, 0x4b0
	v_mad_u64_u32 v[8:9], s[0:1], s4, v0, v[6:7]
	s_waitcnt lgkmcnt(0)
	v_lshrrev_b32_e32 v11, 16, v4
	v_mul_f16_sdwa v6, v43, v11 dst_sel:DWORD dst_unused:UNUSED_PAD src0_sel:WORD_1 src1_sel:DWORD
	v_fma_f16 v6, v43, v4, v6
	v_cvt_f32_f16_e32 v6, v6
	v_add_u32_e32 v9, s11, v9
	global_store_dword v[8:9], v2, off
	v_mul_f16_sdwa v4, v43, v4 dst_sel:DWORD dst_unused:UNUSED_PAD src0_sel:WORD_1 src1_sel:DWORD
	v_cvt_f64_f32_e32 v[6:7], v6
	v_mul_f64 v[6:7], v[6:7], s[2:3]
	v_and_or_b32 v2, v7, s6, v6
	v_cmp_ne_u32_e32 vcc, 0, v2
	v_lshrrev_b32_e32 v6, 8, v7
	v_bfe_u32 v12, v7, 20, 11
	v_cndmask_b32_e64 v2, 0, 1, vcc
	v_and_or_b32 v2, v6, s7, v2
	v_sub_u32_e32 v13, 0x3f1, v12
	v_or_b32_e32 v6, 0x1000, v2
	v_med3_i32 v13, v13, 0, 13
	v_lshrrev_b32_e32 v14, v13, v6
	v_lshlrev_b32_e32 v13, v13, v14
	v_cmp_ne_u32_e32 vcc, v13, v6
	v_add_u32_e32 v12, 0xfffffc10, v12
	v_lshl_or_b32 v13, v12, 12, v2
	v_cndmask_b32_e64 v6, 0, 1, vcc
	v_or_b32_e32 v6, v14, v6
	v_cmp_gt_i32_e32 vcc, 1, v12
	v_fma_f16 v4, v43, v11, -v4
	v_cvt_f32_f16_e32 v4, v4
	v_cndmask_b32_e32 v6, v13, v6, vcc
	v_and_b32_e32 v13, 7, v6
	v_cmp_lt_i32_e32 vcc, 5, v13
	v_cmp_eq_u32_e64 s[0:1], 3, v13
	v_lshrrev_b32_e32 v6, 2, v6
	s_or_b64 vcc, s[0:1], vcc
	v_addc_co_u32_e32 v6, vcc, 0, v6, vcc
	v_cmp_gt_i32_e32 vcc, 31, v12
	v_and_b32_sdwa v11, v7, s9 dst_sel:DWORD dst_unused:UNUSED_PAD src0_sel:WORD_1 src1_sel:DWORD
	s_nop 0
	v_cndmask_b32_e32 v6, v10, v6, vcc
	v_cmp_ne_u32_e32 vcc, 0, v2
	s_nop 1
	v_cndmask_b32_e64 v2, 0, 1, vcc
	v_lshl_or_b32 v2, v2, 9, v10
	v_cmp_eq_u32_e32 vcc, s8, v12
	s_nop 1
	v_cndmask_b32_e32 v2, v6, v2, vcc
	v_cvt_f64_f32_e32 v[6:7], v4
	v_mul_f64 v[12:13], v[6:7], s[2:3]
	v_and_or_b32 v4, v13, s6, v12
	v_cmp_ne_u32_e32 vcc, 0, v4
	v_lshrrev_b32_e32 v6, 8, v13
	v_bfe_u32 v7, v13, 20, 11
	v_cndmask_b32_e64 v4, 0, 1, vcc
	v_and_or_b32 v4, v6, s7, v4
	v_sub_u32_e32 v12, 0x3f1, v7
	v_or_b32_e32 v6, 0x1000, v4
	v_med3_i32 v12, v12, 0, 13
	v_lshrrev_b32_e32 v14, v12, v6
	v_lshlrev_b32_e32 v12, v12, v14
	v_cmp_ne_u32_e32 vcc, v12, v6
	v_add_u32_e32 v7, 0xfffffc10, v7
	v_lshl_or_b32 v12, v7, 12, v4
	v_cndmask_b32_e64 v6, 0, 1, vcc
	v_or_b32_e32 v6, v14, v6
	v_cmp_gt_i32_e32 vcc, 1, v7
	v_bitop3_b32 v2, v11, s10, v2 bitop3:0xc8
	s_nop 0
	v_cndmask_b32_e32 v6, v12, v6, vcc
	v_and_b32_e32 v12, 7, v6
	v_cmp_lt_i32_e32 vcc, 5, v12
	v_cmp_eq_u32_e64 s[0:1], 3, v12
	v_lshrrev_b32_e32 v6, 2, v6
	s_or_b64 vcc, s[0:1], vcc
	v_addc_co_u32_e32 v6, vcc, 0, v6, vcc
	v_cmp_gt_i32_e32 vcc, 31, v7
	v_lshrrev_b32_e32 v12, 16, v13
	s_nop 0
	v_cndmask_b32_e32 v6, v10, v6, vcc
	v_cmp_ne_u32_e32 vcc, 0, v4
	s_nop 1
	v_cndmask_b32_e64 v4, 0, 1, vcc
	v_lshl_or_b32 v4, v4, 9, v10
	v_cmp_eq_u32_e32 vcc, s8, v7
	s_nop 1
	v_cndmask_b32_e32 v4, v6, v4, vcc
	v_add_u32_e32 v6, 0xe00, v16
	ds_read2_b32 v[6:7], v6 offset0:4 offset1:154
	v_and_or_b32 v4, v12, s9, v4
	v_lshl_or_b32 v2, v4, 16, v2
	v_mad_u64_u32 v[12:13], s[0:1], s4, v0, v[8:9]
	s_waitcnt lgkmcnt(0)
	v_lshrrev_b32_e32 v4, 16, v6
	v_mul_f16_sdwa v11, v42, v4 dst_sel:DWORD dst_unused:UNUSED_PAD src0_sel:WORD_1 src1_sel:DWORD
	v_fma_f16 v11, v42, v6, v11
	v_cvt_f32_f16_e32 v11, v11
	v_add_u32_e32 v13, s11, v13
	global_store_dword v[12:13], v2, off
	v_mul_f16_sdwa v6, v42, v6 dst_sel:DWORD dst_unused:UNUSED_PAD src0_sel:WORD_1 src1_sel:DWORD
	v_cvt_f64_f32_e32 v[8:9], v11
	v_mul_f64 v[8:9], v[8:9], s[2:3]
	v_and_or_b32 v2, v9, s6, v8
	v_cmp_ne_u32_e32 vcc, 0, v2
	v_lshrrev_b32_e32 v8, 8, v9
	v_bfe_u32 v11, v9, 20, 11
	v_cndmask_b32_e64 v2, 0, 1, vcc
	v_and_or_b32 v2, v8, s7, v2
	v_sub_u32_e32 v14, 0x3f1, v11
	v_or_b32_e32 v8, 0x1000, v2
	v_med3_i32 v14, v14, 0, 13
	v_lshrrev_b32_e32 v15, v14, v8
	v_lshlrev_b32_e32 v14, v14, v15
	v_cmp_ne_u32_e32 vcc, v14, v8
	v_add_u32_e32 v11, 0xfffffc10, v11
	v_lshl_or_b32 v14, v11, 12, v2
	v_cndmask_b32_e64 v8, 0, 1, vcc
	v_or_b32_e32 v8, v15, v8
	v_cmp_gt_i32_e32 vcc, 1, v11
	v_fma_f16 v4, v42, v4, -v6
	v_cvt_f32_f16_e32 v4, v4
	v_cndmask_b32_e32 v8, v14, v8, vcc
	v_and_b32_e32 v14, 7, v8
	v_cmp_lt_i32_e32 vcc, 5, v14
	v_cmp_eq_u32_e64 s[0:1], 3, v14
	v_lshrrev_b32_e32 v8, 2, v8
	s_or_b64 vcc, s[0:1], vcc
	v_addc_co_u32_e32 v8, vcc, 0, v8, vcc
	v_cmp_gt_i32_e32 vcc, 31, v11
	v_and_b32_sdwa v6, v9, s9 dst_sel:DWORD dst_unused:UNUSED_PAD src0_sel:WORD_1 src1_sel:DWORD
	s_nop 0
	v_cndmask_b32_e32 v8, v10, v8, vcc
	v_cmp_ne_u32_e32 vcc, 0, v2
	s_nop 1
	v_cndmask_b32_e64 v2, 0, 1, vcc
	v_lshl_or_b32 v2, v2, 9, v10
	v_cmp_eq_u32_e32 vcc, s8, v11
	s_nop 1
	v_cndmask_b32_e32 v2, v8, v2, vcc
	v_cvt_f64_f32_e32 v[8:9], v4
	v_mul_f64 v[14:15], v[8:9], s[2:3]
	v_and_or_b32 v4, v15, s6, v14
	v_cmp_ne_u32_e32 vcc, 0, v4
	v_lshrrev_b32_e32 v8, 8, v15
	v_bfe_u32 v9, v15, 20, 11
	v_cndmask_b32_e64 v4, 0, 1, vcc
	v_and_or_b32 v4, v8, s7, v4
	v_sub_u32_e32 v11, 0x3f1, v9
	v_or_b32_e32 v8, 0x1000, v4
	v_med3_i32 v11, v11, 0, 13
	v_lshrrev_b32_e32 v14, v11, v8
	v_lshlrev_b32_e32 v11, v11, v14
	v_cmp_ne_u32_e32 vcc, v11, v8
	v_add_u32_e32 v9, 0xfffffc10, v9
	v_lshl_or_b32 v11, v9, 12, v4
	v_cndmask_b32_e64 v8, 0, 1, vcc
	v_or_b32_e32 v8, v14, v8
	v_cmp_gt_i32_e32 vcc, 1, v9
	v_bitop3_b32 v2, v6, s10, v2 bitop3:0xc8
	s_nop 0
	v_cndmask_b32_e32 v8, v11, v8, vcc
	v_and_b32_e32 v11, 7, v8
	v_cmp_lt_i32_e32 vcc, 5, v11
	v_cmp_eq_u32_e64 s[0:1], 3, v11
	v_lshrrev_b32_e32 v8, 2, v8
	s_or_b64 vcc, s[0:1], vcc
	v_addc_co_u32_e32 v8, vcc, 0, v8, vcc
	v_cmp_gt_i32_e32 vcc, 31, v9
	v_lshrrev_b32_e32 v11, 16, v15
	v_mad_u64_u32 v[12:13], s[0:1], s4, v0, v[12:13]
	v_cndmask_b32_e32 v8, v10, v8, vcc
	v_cmp_ne_u32_e32 vcc, 0, v4
	v_add_u32_e32 v13, s11, v13
	s_nop 0
	v_cndmask_b32_e64 v4, 0, 1, vcc
	v_lshl_or_b32 v4, v4, 9, v10
	v_cmp_eq_u32_e32 vcc, s8, v9
	s_nop 1
	v_cndmask_b32_e32 v4, v8, v4, vcc
	v_add_u32_e32 v8, 0x1200, v16
	ds_read2_b32 v[8:9], v8 offset0:48 offset1:198
	v_and_or_b32 v4, v11, s9, v4
	v_lshl_or_b32 v2, v4, 16, v2
	global_store_dword v[12:13], v2, off
	s_waitcnt lgkmcnt(0)
	v_lshrrev_b32_e32 v4, 16, v8
	v_mul_f16_sdwa v6, v41, v4 dst_sel:DWORD dst_unused:UNUSED_PAD src0_sel:WORD_1 src1_sel:DWORD
	v_fma_f16 v6, v41, v8, v6
	v_cvt_f32_f16_e32 v6, v6
	v_mul_f16_sdwa v8, v41, v8 dst_sel:DWORD dst_unused:UNUSED_PAD src0_sel:WORD_1 src1_sel:DWORD
	v_fma_f16 v4, v41, v4, -v8
	v_cvt_f32_f16_e32 v4, v4
	v_cvt_f64_f32_e32 v[14:15], v6
	v_mul_f64 v[14:15], v[14:15], s[2:3]
	v_and_or_b32 v2, v15, s6, v14
	v_cmp_ne_u32_e32 vcc, 0, v2
	v_lshrrev_b32_e32 v6, 8, v15
	v_bfe_u32 v11, v15, 20, 11
	v_cndmask_b32_e64 v2, 0, 1, vcc
	v_and_or_b32 v2, v6, s7, v2
	v_sub_u32_e32 v14, 0x3f1, v11
	v_or_b32_e32 v6, 0x1000, v2
	v_med3_i32 v14, v14, 0, 13
	v_lshrrev_b32_e32 v16, v14, v6
	v_lshlrev_b32_e32 v14, v14, v16
	v_cmp_ne_u32_e32 vcc, v14, v6
	v_add_u32_e32 v11, 0xfffffc10, v11
	v_lshl_or_b32 v14, v11, 12, v2
	v_cndmask_b32_e64 v6, 0, 1, vcc
	v_or_b32_e32 v6, v16, v6
	v_cmp_gt_i32_e32 vcc, 1, v11
	s_nop 1
	v_cndmask_b32_e32 v6, v14, v6, vcc
	v_and_b32_e32 v14, 7, v6
	v_cmp_lt_i32_e32 vcc, 5, v14
	v_cmp_eq_u32_e64 s[0:1], 3, v14
	v_lshrrev_b32_e32 v6, 2, v6
	s_or_b64 vcc, s[0:1], vcc
	v_addc_co_u32_e32 v6, vcc, 0, v6, vcc
	v_cmp_gt_i32_e32 vcc, 31, v11
	s_nop 1
	v_cndmask_b32_e32 v6, v10, v6, vcc
	v_cmp_ne_u32_e32 vcc, 0, v2
	s_nop 1
	v_cndmask_b32_e64 v2, 0, 1, vcc
	v_lshl_or_b32 v2, v2, 9, v10
	v_cmp_eq_u32_e32 vcc, s8, v11
	s_nop 1
	v_cndmask_b32_e32 v2, v6, v2, vcc
	v_and_b32_sdwa v6, v15, s9 dst_sel:DWORD dst_unused:UNUSED_PAD src0_sel:WORD_1 src1_sel:DWORD
	v_cvt_f64_f32_e32 v[14:15], v4
	v_mul_f64 v[14:15], v[14:15], s[2:3]
	v_and_or_b32 v4, v15, s6, v14
	v_cmp_ne_u32_e32 vcc, 0, v4
	v_lshrrev_b32_e32 v8, 8, v15
	v_bfe_u32 v11, v15, 20, 11
	v_cndmask_b32_e64 v4, 0, 1, vcc
	v_and_or_b32 v4, v8, s7, v4
	v_sub_u32_e32 v14, 0x3f1, v11
	v_or_b32_e32 v8, 0x1000, v4
	v_med3_i32 v14, v14, 0, 13
	v_lshrrev_b32_e32 v16, v14, v8
	v_lshlrev_b32_e32 v14, v14, v16
	v_cmp_ne_u32_e32 vcc, v14, v8
	v_add_u32_e32 v11, 0xfffffc10, v11
	v_lshl_or_b32 v14, v11, 12, v4
	v_cndmask_b32_e64 v8, 0, 1, vcc
	v_or_b32_e32 v8, v16, v8
	v_cmp_gt_i32_e32 vcc, 1, v11
	v_bitop3_b32 v2, v6, s10, v2 bitop3:0xc8
	s_nop 0
	v_cndmask_b32_e32 v8, v14, v8, vcc
	v_and_b32_e32 v14, 7, v8
	v_cmp_lt_i32_e32 vcc, 5, v14
	v_cmp_eq_u32_e64 s[0:1], 3, v14
	v_lshrrev_b32_e32 v8, 2, v8
	s_or_b64 vcc, s[0:1], vcc
	v_addc_co_u32_e32 v8, vcc, 0, v8, vcc
	v_cmp_gt_i32_e32 vcc, 31, v11
	v_mad_u64_u32 v[12:13], s[0:1], s4, v0, v[12:13]
	s_nop 0
	v_cndmask_b32_e32 v8, v10, v8, vcc
	v_cmp_ne_u32_e32 vcc, 0, v4
	v_add_u32_e32 v13, s11, v13
	s_nop 0
	v_cndmask_b32_e64 v4, 0, 1, vcc
	v_lshl_or_b32 v4, v4, 9, v10
	v_cmp_eq_u32_e32 vcc, s8, v11
	s_nop 1
	v_cndmask_b32_e32 v4, v8, v4, vcc
	v_lshrrev_b32_e32 v8, 16, v15
	v_and_or_b32 v4, v8, s9, v4
	v_lshl_or_b32 v2, v4, 16, v2
	v_lshrrev_b32_e32 v4, 16, v1
	v_mul_f16_sdwa v6, v40, v4 dst_sel:DWORD dst_unused:UNUSED_PAD src0_sel:WORD_1 src1_sel:DWORD
	v_fma_f16 v6, v40, v1, v6
	v_cvt_f32_f16_e32 v6, v6
	global_store_dword v[12:13], v2, off
	v_mul_f16_sdwa v1, v40, v1 dst_sel:DWORD dst_unused:UNUSED_PAD src0_sel:WORD_1 src1_sel:DWORD
	v_fma_f16 v1, v40, v4, -v1
	v_cvt_f64_f32_e32 v[14:15], v6
	v_mul_f64 v[14:15], v[14:15], s[2:3]
	v_and_or_b32 v2, v15, s6, v14
	v_cmp_ne_u32_e32 vcc, 0, v2
	v_lshrrev_b32_e32 v6, 8, v15
	v_bfe_u32 v8, v15, 20, 11
	v_cndmask_b32_e64 v2, 0, 1, vcc
	v_and_or_b32 v2, v6, s7, v2
	v_sub_u32_e32 v11, 0x3f1, v8
	v_or_b32_e32 v6, 0x1000, v2
	v_med3_i32 v11, v11, 0, 13
	v_lshrrev_b32_e32 v14, v11, v6
	v_lshlrev_b32_e32 v11, v11, v14
	v_cmp_ne_u32_e32 vcc, v11, v6
	v_add_u32_e32 v8, 0xfffffc10, v8
	v_lshl_or_b32 v11, v8, 12, v2
	v_cndmask_b32_e64 v6, 0, 1, vcc
	v_or_b32_e32 v6, v14, v6
	v_cmp_gt_i32_e32 vcc, 1, v8
	v_cvt_f32_f16_e32 v1, v1
	v_and_b32_sdwa v4, v15, s9 dst_sel:DWORD dst_unused:UNUSED_PAD src0_sel:WORD_1 src1_sel:DWORD
	v_cndmask_b32_e32 v6, v11, v6, vcc
	v_and_b32_e32 v11, 7, v6
	v_cmp_lt_i32_e32 vcc, 5, v11
	v_cmp_eq_u32_e64 s[0:1], 3, v11
	v_lshrrev_b32_e32 v6, 2, v6
	s_or_b64 vcc, s[0:1], vcc
	v_addc_co_u32_e32 v6, vcc, 0, v6, vcc
	v_cmp_gt_i32_e32 vcc, 31, v8
	v_cvt_f64_f32_e32 v[14:15], v1
	v_mul_f64 v[14:15], v[14:15], s[2:3]
	v_cndmask_b32_e32 v6, v10, v6, vcc
	v_cmp_ne_u32_e32 vcc, 0, v2
	v_and_or_b32 v1, v15, s6, v14
	s_nop 0
	v_cndmask_b32_e64 v2, 0, 1, vcc
	v_lshl_or_b32 v2, v2, 9, v10
	v_cmp_eq_u32_e32 vcc, s8, v8
	v_bfe_u32 v8, v15, 20, 11
	v_sub_u32_e32 v11, 0x3f1, v8
	v_cndmask_b32_e32 v2, v6, v2, vcc
	v_cmp_ne_u32_e32 vcc, 0, v1
	v_lshrrev_b32_e32 v6, 8, v15
	v_med3_i32 v11, v11, 0, 13
	v_cndmask_b32_e64 v1, 0, 1, vcc
	v_and_or_b32 v1, v6, s7, v1
	v_or_b32_e32 v6, 0x1000, v1
	v_lshrrev_b32_e32 v14, v11, v6
	v_lshlrev_b32_e32 v11, v11, v14
	v_cmp_ne_u32_e32 vcc, v11, v6
	v_add_u32_e32 v8, 0xfffffc10, v8
	v_lshl_or_b32 v11, v8, 12, v1
	v_cndmask_b32_e64 v6, 0, 1, vcc
	v_or_b32_e32 v6, v14, v6
	v_cmp_gt_i32_e32 vcc, 1, v8
	v_bitop3_b32 v2, v4, s10, v2 bitop3:0xc8
	s_nop 0
	v_cndmask_b32_e32 v6, v11, v6, vcc
	v_and_b32_e32 v11, 7, v6
	v_cmp_lt_i32_e32 vcc, 5, v11
	v_cmp_eq_u32_e64 s[0:1], 3, v11
	v_lshrrev_b32_e32 v6, 2, v6
	s_or_b64 vcc, s[0:1], vcc
	v_addc_co_u32_e32 v6, vcc, 0, v6, vcc
	v_cmp_gt_i32_e32 vcc, 31, v8
	s_nop 1
	v_cndmask_b32_e32 v6, v10, v6, vcc
	v_cmp_ne_u32_e32 vcc, 0, v1
	s_nop 1
	v_cndmask_b32_e64 v1, 0, 1, vcc
	v_lshl_or_b32 v1, v1, 9, v10
	v_cmp_eq_u32_e32 vcc, s8, v8
	s_nop 1
	v_cndmask_b32_e32 v1, v6, v1, vcc
	v_lshrrev_b32_e32 v6, 16, v15
	v_and_or_b32 v1, v6, s9, v1
	v_lshl_or_b32 v1, v1, 16, v2
	v_mov_b32_e32 v2, 0xffffef98
	v_mad_u64_u32 v[12:13], s[0:1], s4, v2, v[12:13]
	v_lshrrev_b32_e32 v2, 16, v3
	v_mul_f16_sdwa v4, v39, v2 dst_sel:DWORD dst_unused:UNUSED_PAD src0_sel:WORD_1 src1_sel:DWORD
	v_fma_f16 v4, v39, v3, v4
	v_cvt_f32_f16_e32 v4, v4
	s_mul_i32 s0, s5, 0xffffef98
	s_sub_i32 s0, s0, s4
	v_add_u32_e32 v13, s0, v13
	v_cvt_f64_f32_e32 v[14:15], v4
	v_mul_f64 v[14:15], v[14:15], s[2:3]
	global_store_dword v[12:13], v1, off
	v_and_or_b32 v1, v15, s6, v14
	v_cmp_ne_u32_e32 vcc, 0, v1
	v_lshrrev_b32_e32 v4, 8, v15
	v_bfe_u32 v6, v15, 20, 11
	v_cndmask_b32_e64 v1, 0, 1, vcc
	v_and_or_b32 v1, v4, s7, v1
	v_sub_u32_e32 v8, 0x3f1, v6
	v_or_b32_e32 v4, 0x1000, v1
	v_med3_i32 v8, v8, 0, 13
	v_lshrrev_b32_e32 v11, v8, v4
	v_lshlrev_b32_e32 v8, v8, v11
	v_cmp_ne_u32_e32 vcc, v8, v4
	v_add_u32_e32 v6, 0xfffffc10, v6
	v_lshl_or_b32 v8, v6, 12, v1
	v_cndmask_b32_e64 v4, 0, 1, vcc
	v_or_b32_e32 v4, v11, v4
	v_cmp_gt_i32_e32 vcc, 1, v6
	v_mul_f16_sdwa v3, v39, v3 dst_sel:DWORD dst_unused:UNUSED_PAD src0_sel:WORD_1 src1_sel:DWORD
	v_fma_f16 v2, v39, v2, -v3
	v_cndmask_b32_e32 v4, v8, v4, vcc
	v_and_b32_e32 v8, 7, v4
	v_cmp_lt_i32_e32 vcc, 5, v8
	v_cmp_eq_u32_e64 s[0:1], 3, v8
	v_cvt_f32_f16_e32 v2, v2
	v_lshrrev_b32_e32 v4, 2, v4
	s_or_b64 vcc, s[0:1], vcc
	v_addc_co_u32_e32 v4, vcc, 0, v4, vcc
	v_cmp_gt_i32_e32 vcc, 31, v6
	v_cvt_f64_f32_e32 v[2:3], v2
	v_mul_f64 v[2:3], v[2:3], s[2:3]
	v_cndmask_b32_e32 v4, v10, v4, vcc
	v_cmp_ne_u32_e32 vcc, 0, v1
	v_and_or_b32 v2, v3, s6, v2
	v_bfe_u32 v8, v3, 20, 11
	v_cndmask_b32_e64 v1, 0, 1, vcc
	v_lshl_or_b32 v1, v1, 9, v10
	v_cmp_eq_u32_e32 vcc, s8, v6
	v_lshrrev_b32_e32 v6, 8, v3
	v_sub_u32_e32 v11, 0x3f1, v8
	v_cndmask_b32_e32 v1, v4, v1, vcc
	v_cmp_ne_u32_e32 vcc, 0, v2
	v_med3_i32 v11, v11, 0, 13
	v_add_u32_e32 v8, 0xfffffc10, v8
	v_cndmask_b32_e64 v2, 0, 1, vcc
	v_and_or_b32 v2, v6, s7, v2
	v_or_b32_e32 v6, 0x1000, v2
	v_lshrrev_b32_e32 v14, v11, v6
	v_lshlrev_b32_e32 v11, v11, v14
	v_cmp_ne_u32_e32 vcc, v11, v6
	v_lshl_or_b32 v11, v8, 12, v2
	v_and_b32_sdwa v4, v15, s9 dst_sel:DWORD dst_unused:UNUSED_PAD src0_sel:WORD_1 src1_sel:DWORD
	v_cndmask_b32_e64 v6, 0, 1, vcc
	v_or_b32_e32 v6, v14, v6
	v_cmp_gt_i32_e32 vcc, 1, v8
	v_lshrrev_b32_e32 v3, 16, v3
	v_bitop3_b32 v1, v4, s10, v1 bitop3:0xc8
	v_cndmask_b32_e32 v6, v11, v6, vcc
	v_and_b32_e32 v11, 7, v6
	v_cmp_lt_i32_e32 vcc, 5, v11
	v_cmp_eq_u32_e64 s[0:1], 3, v11
	v_lshrrev_b32_e32 v6, 2, v6
	s_or_b64 vcc, s[0:1], vcc
	v_addc_co_u32_e32 v6, vcc, 0, v6, vcc
	v_cmp_gt_i32_e32 vcc, 31, v8
	v_lshrrev_b32_e32 v4, 16, v5
	s_nop 0
	v_cndmask_b32_e32 v6, v10, v6, vcc
	v_cmp_ne_u32_e32 vcc, 0, v2
	s_nop 1
	v_cndmask_b32_e64 v2, 0, 1, vcc
	v_lshl_or_b32 v2, v2, 9, v10
	v_cmp_eq_u32_e32 vcc, s8, v8
	s_nop 1
	v_cndmask_b32_e32 v2, v6, v2, vcc
	v_and_or_b32 v2, v3, s9, v2
	v_lshl_or_b32 v1, v2, 16, v1
	v_mul_f16_sdwa v2, v38, v4 dst_sel:DWORD dst_unused:UNUSED_PAD src0_sel:WORD_1 src1_sel:DWORD
	v_fma_f16 v2, v38, v5, v2
	v_cvt_f32_f16_e32 v6, v2
	v_mad_u64_u32 v[2:3], s[0:1], s4, v0, v[12:13]
	v_add_u32_e32 v3, s11, v3
	v_cvt_f64_f32_e32 v[12:13], v6
	v_mul_f64 v[12:13], v[12:13], s[2:3]
	global_store_dword v[2:3], v1, off
	v_and_or_b32 v1, v13, s6, v12
	v_cmp_ne_u32_e32 vcc, 0, v1
	v_lshrrev_b32_e32 v6, 8, v13
	v_bfe_u32 v8, v13, 20, 11
	v_cndmask_b32_e64 v1, 0, 1, vcc
	v_and_or_b32 v1, v6, s7, v1
	v_sub_u32_e32 v11, 0x3f1, v8
	v_or_b32_e32 v6, 0x1000, v1
	v_med3_i32 v11, v11, 0, 13
	v_lshrrev_b32_e32 v12, v11, v6
	v_lshlrev_b32_e32 v11, v11, v12
	v_cmp_ne_u32_e32 vcc, v11, v6
	v_add_u32_e32 v8, 0xfffffc10, v8
	v_lshl_or_b32 v11, v8, 12, v1
	v_cndmask_b32_e64 v6, 0, 1, vcc
	v_or_b32_e32 v6, v12, v6
	v_cmp_gt_i32_e32 vcc, 1, v8
	v_mul_f16_sdwa v5, v38, v5 dst_sel:DWORD dst_unused:UNUSED_PAD src0_sel:WORD_1 src1_sel:DWORD
	v_fma_f16 v4, v38, v4, -v5
	v_cndmask_b32_e32 v6, v11, v6, vcc
	v_and_b32_e32 v11, 7, v6
	v_cmp_lt_i32_e32 vcc, 5, v11
	v_cmp_eq_u32_e64 s[0:1], 3, v11
	v_cvt_f32_f16_e32 v4, v4
	v_lshrrev_b32_e32 v6, 2, v6
	s_or_b64 vcc, s[0:1], vcc
	v_addc_co_u32_e32 v6, vcc, 0, v6, vcc
	v_cmp_gt_i32_e32 vcc, 31, v8
	v_cvt_f64_f32_e32 v[4:5], v4
	v_mul_f64 v[4:5], v[4:5], s[2:3]
	v_cndmask_b32_e32 v6, v10, v6, vcc
	v_cmp_ne_u32_e32 vcc, 0, v1
	v_and_or_b32 v4, v5, s6, v4
	v_bfe_u32 v11, v5, 20, 11
	v_cndmask_b32_e64 v1, 0, 1, vcc
	v_lshl_or_b32 v1, v1, 9, v10
	v_cmp_eq_u32_e32 vcc, s8, v8
	v_lshrrev_b32_e32 v8, 8, v5
	v_sub_u32_e32 v12, 0x3f1, v11
	v_cndmask_b32_e32 v1, v6, v1, vcc
	v_cmp_ne_u32_e32 vcc, 0, v4
	v_med3_i32 v12, v12, 0, 13
	v_and_b32_sdwa v6, v13, s9 dst_sel:DWORD dst_unused:UNUSED_PAD src0_sel:WORD_1 src1_sel:DWORD
	v_cndmask_b32_e64 v4, 0, 1, vcc
	v_and_or_b32 v4, v8, s7, v4
	v_or_b32_e32 v8, 0x1000, v4
	v_lshrrev_b32_e32 v13, v12, v8
	v_lshlrev_b32_e32 v12, v12, v13
	v_cmp_ne_u32_e32 vcc, v12, v8
	v_add_u32_e32 v11, 0xfffffc10, v11
	v_lshl_or_b32 v12, v11, 12, v4
	v_cndmask_b32_e64 v8, 0, 1, vcc
	v_or_b32_e32 v8, v13, v8
	v_cmp_gt_i32_e32 vcc, 1, v11
	v_lshrrev_b32_e32 v5, 16, v5
	v_bitop3_b32 v1, v6, s10, v1 bitop3:0xc8
	v_cndmask_b32_e32 v8, v12, v8, vcc
	v_and_b32_e32 v12, 7, v8
	v_cmp_lt_i32_e32 vcc, 5, v12
	v_cmp_eq_u32_e64 s[0:1], 3, v12
	v_lshrrev_b32_e32 v8, 2, v8
	s_or_b64 vcc, s[0:1], vcc
	v_addc_co_u32_e32 v8, vcc, 0, v8, vcc
	v_cmp_gt_i32_e32 vcc, 31, v11
	v_lshrrev_b32_e32 v6, 16, v7
	v_mad_u64_u32 v[2:3], s[0:1], s4, v0, v[2:3]
	v_cndmask_b32_e32 v8, v10, v8, vcc
	v_cmp_ne_u32_e32 vcc, 0, v4
	v_add_u32_e32 v3, s11, v3
	s_nop 0
	v_cndmask_b32_e64 v4, 0, 1, vcc
	v_lshl_or_b32 v4, v4, 9, v10
	v_cmp_eq_u32_e32 vcc, s8, v11
	s_nop 1
	v_cndmask_b32_e32 v4, v8, v4, vcc
	v_and_or_b32 v4, v5, s9, v4
	v_lshl_or_b32 v1, v4, 16, v1
	v_mul_f16_sdwa v4, v21, v6 dst_sel:DWORD dst_unused:UNUSED_PAD src0_sel:WORD_1 src1_sel:DWORD
	v_fma_f16 v4, v21, v7, v4
	v_cvt_f32_f16_e32 v4, v4
	global_store_dword v[2:3], v1, off
	v_mul_f16_sdwa v7, v21, v7 dst_sel:DWORD dst_unused:UNUSED_PAD src0_sel:WORD_1 src1_sel:DWORD
	v_fma_f16 v6, v21, v6, -v7
	v_cvt_f64_f32_e32 v[4:5], v4
	v_mul_f64 v[4:5], v[4:5], s[2:3]
	v_and_or_b32 v1, v5, s6, v4
	v_cmp_ne_u32_e32 vcc, 0, v1
	v_lshrrev_b32_e32 v4, 8, v5
	v_bfe_u32 v8, v5, 20, 11
	v_cndmask_b32_e64 v1, 0, 1, vcc
	v_and_or_b32 v1, v4, s7, v1
	v_sub_u32_e32 v11, 0x3f1, v8
	v_or_b32_e32 v4, 0x1000, v1
	v_med3_i32 v11, v11, 0, 13
	v_lshrrev_b32_e32 v12, v11, v4
	v_lshlrev_b32_e32 v11, v11, v12
	v_cmp_ne_u32_e32 vcc, v11, v4
	v_add_u32_e32 v8, 0xfffffc10, v8
	v_lshl_or_b32 v11, v8, 12, v1
	v_cndmask_b32_e64 v4, 0, 1, vcc
	v_or_b32_e32 v4, v12, v4
	v_cmp_gt_i32_e32 vcc, 1, v8
	v_cvt_f32_f16_e32 v6, v6
	v_and_b32_sdwa v7, v5, s9 dst_sel:DWORD dst_unused:UNUSED_PAD src0_sel:WORD_1 src1_sel:DWORD
	v_cndmask_b32_e32 v4, v11, v4, vcc
	v_and_b32_e32 v11, 7, v4
	v_cmp_lt_i32_e32 vcc, 5, v11
	v_cmp_eq_u32_e64 s[0:1], 3, v11
	v_lshrrev_b32_e32 v4, 2, v4
	s_or_b64 vcc, s[0:1], vcc
	v_addc_co_u32_e32 v4, vcc, 0, v4, vcc
	v_cmp_gt_i32_e32 vcc, 31, v8
	s_nop 1
	v_cndmask_b32_e32 v4, v10, v4, vcc
	v_cmp_ne_u32_e32 vcc, 0, v1
	s_nop 1
	v_cndmask_b32_e64 v1, 0, 1, vcc
	v_lshl_or_b32 v1, v1, 9, v10
	v_cmp_eq_u32_e32 vcc, s8, v8
	s_nop 1
	v_cndmask_b32_e32 v1, v4, v1, vcc
	v_cvt_f64_f32_e32 v[4:5], v6
	v_mul_f64 v[4:5], v[4:5], s[2:3]
	v_and_or_b32 v4, v5, s6, v4
	v_cmp_ne_u32_e32 vcc, 0, v4
	v_lshrrev_b32_e32 v6, 8, v5
	v_bfe_u32 v8, v5, 20, 11
	v_cndmask_b32_e64 v4, 0, 1, vcc
	v_and_or_b32 v4, v6, s7, v4
	v_sub_u32_e32 v11, 0x3f1, v8
	v_or_b32_e32 v6, 0x1000, v4
	v_med3_i32 v11, v11, 0, 13
	v_lshrrev_b32_e32 v12, v11, v6
	v_lshlrev_b32_e32 v11, v11, v12
	v_cmp_ne_u32_e32 vcc, v11, v6
	v_add_u32_e32 v8, 0xfffffc10, v8
	v_lshl_or_b32 v11, v8, 12, v4
	v_cndmask_b32_e64 v6, 0, 1, vcc
	v_or_b32_e32 v6, v12, v6
	v_cmp_gt_i32_e32 vcc, 1, v8
	v_lshrrev_b32_e32 v5, 16, v5
	v_bitop3_b32 v1, v7, s10, v1 bitop3:0xc8
	v_cndmask_b32_e32 v6, v11, v6, vcc
	v_and_b32_e32 v11, 7, v6
	v_cmp_lt_i32_e32 vcc, 5, v11
	v_cmp_eq_u32_e64 s[0:1], 3, v11
	v_lshrrev_b32_e32 v6, 2, v6
	s_or_b64 vcc, s[0:1], vcc
	v_addc_co_u32_e32 v6, vcc, 0, v6, vcc
	v_cmp_gt_i32_e32 vcc, 31, v8
	v_mad_u64_u32 v[2:3], s[0:1], s4, v0, v[2:3]
	s_nop 0
	v_cndmask_b32_e32 v6, v10, v6, vcc
	v_cmp_ne_u32_e32 vcc, 0, v4
	v_add_u32_e32 v3, s11, v3
	s_nop 0
	v_cndmask_b32_e64 v4, 0, 1, vcc
	v_lshl_or_b32 v4, v4, 9, v10
	v_cmp_eq_u32_e32 vcc, s8, v8
	s_nop 1
	v_cndmask_b32_e32 v4, v6, v4, vcc
	v_and_or_b32 v4, v5, s9, v4
	v_lshrrev_b32_e32 v6, 16, v9
	v_lshl_or_b32 v1, v4, 16, v1
	v_mul_f16_sdwa v4, v17, v6 dst_sel:DWORD dst_unused:UNUSED_PAD src0_sel:WORD_1 src1_sel:DWORD
	v_fma_f16 v4, v17, v9, v4
	v_cvt_f32_f16_e32 v4, v4
	global_store_dword v[2:3], v1, off
	v_cvt_f64_f32_e32 v[4:5], v4
	v_mul_f64 v[4:5], v[4:5], s[2:3]
	v_and_or_b32 v1, v5, s6, v4
	v_cmp_ne_u32_e32 vcc, 0, v1
	v_lshrrev_b32_e32 v4, 8, v5
	v_bfe_u32 v7, v5, 20, 11
	v_cndmask_b32_e64 v1, 0, 1, vcc
	v_and_or_b32 v1, v4, s7, v1
	v_sub_u32_e32 v8, 0x3f1, v7
	v_or_b32_e32 v4, 0x1000, v1
	v_med3_i32 v8, v8, 0, 13
	v_lshrrev_b32_e32 v11, v8, v4
	v_lshlrev_b32_e32 v8, v8, v11
	v_cmp_ne_u32_e32 vcc, v8, v4
	v_add_u32_e32 v7, 0xfffffc10, v7
	v_lshl_or_b32 v8, v7, 12, v1
	v_cndmask_b32_e64 v4, 0, 1, vcc
	v_or_b32_e32 v4, v11, v4
	v_cmp_gt_i32_e32 vcc, 1, v7
	s_nop 1
	v_cndmask_b32_e32 v4, v8, v4, vcc
	v_and_b32_e32 v8, 7, v4
	v_cmp_lt_i32_e32 vcc, 5, v8
	v_cmp_eq_u32_e64 s[0:1], 3, v8
	v_lshrrev_b32_e32 v4, 2, v4
	s_or_b64 vcc, s[0:1], vcc
	v_mul_f16_sdwa v8, v17, v9 dst_sel:DWORD dst_unused:UNUSED_PAD src0_sel:WORD_1 src1_sel:DWORD
	v_addc_co_u32_e32 v4, vcc, 0, v4, vcc
	v_fma_f16 v6, v17, v6, -v8
	v_cmp_gt_i32_e32 vcc, 31, v7
	v_cvt_f32_f16_e32 v6, v6
	s_nop 0
	v_cndmask_b32_e32 v4, v10, v4, vcc
	v_cmp_ne_u32_e32 vcc, 0, v1
	s_nop 1
	v_cndmask_b32_e64 v1, 0, 1, vcc
	v_lshl_or_b32 v1, v1, 9, v10
	v_cmp_eq_u32_e32 vcc, s8, v7
	v_and_b32_sdwa v7, v5, s9 dst_sel:DWORD dst_unused:UNUSED_PAD src0_sel:WORD_1 src1_sel:DWORD
	s_nop 0
	v_cndmask_b32_e32 v1, v4, v1, vcc
	v_cvt_f64_f32_e32 v[4:5], v6
	v_mul_f64 v[4:5], v[4:5], s[2:3]
	v_and_or_b32 v4, v5, s6, v4
	v_cmp_ne_u32_e32 vcc, 0, v4
	v_lshrrev_b32_e32 v6, 8, v5
	v_bfe_u32 v8, v5, 20, 11
	v_cndmask_b32_e64 v4, 0, 1, vcc
	v_and_or_b32 v4, v6, s7, v4
	v_sub_u32_e32 v9, 0x3f1, v8
	v_or_b32_e32 v6, 0x1000, v4
	v_med3_i32 v9, v9, 0, 13
	v_lshrrev_b32_e32 v11, v9, v6
	v_lshlrev_b32_e32 v9, v9, v11
	v_cmp_ne_u32_e32 vcc, v9, v6
	v_add_u32_e32 v8, 0xfffffc10, v8
	v_lshl_or_b32 v9, v8, 12, v4
	v_cndmask_b32_e64 v6, 0, 1, vcc
	v_or_b32_e32 v6, v11, v6
	v_cmp_gt_i32_e32 vcc, 1, v8
	v_lshrrev_b32_e32 v5, 16, v5
	v_bitop3_b32 v1, v7, s10, v1 bitop3:0xc8
	v_cndmask_b32_e32 v6, v9, v6, vcc
	v_and_b32_e32 v9, 7, v6
	v_cmp_lt_i32_e32 vcc, 5, v9
	v_cmp_eq_u32_e64 s[0:1], 3, v9
	v_lshrrev_b32_e32 v6, 2, v6
	s_or_b64 vcc, s[0:1], vcc
	v_addc_co_u32_e32 v6, vcc, 0, v6, vcc
	v_cmp_gt_i32_e32 vcc, 31, v8
	s_nop 1
	v_cndmask_b32_e32 v6, v10, v6, vcc
	v_cmp_ne_u32_e32 vcc, 0, v4
	s_nop 1
	v_cndmask_b32_e64 v4, 0, 1, vcc
	v_lshl_or_b32 v4, v4, 9, v10
	v_cmp_eq_u32_e32 vcc, s8, v8
	s_nop 1
	v_cndmask_b32_e32 v4, v6, v4, vcc
	v_and_or_b32 v4, v5, s9, v4
	v_lshl_or_b32 v4, v4, 16, v1
	v_mad_u64_u32 v[0:1], s[0:1], s4, v0, v[2:3]
	v_add_u32_e32 v1, s11, v1
	global_store_dword v[0:1], v4, off
.LBB0_10:
	s_endpgm
	.section	.rodata,"a",@progbits
	.p2align	6, 0x0
	.amdhsa_kernel bluestein_single_back_len1500_dim1_half_op_CI_CI
		.amdhsa_group_segment_fixed_size 6000
		.amdhsa_private_segment_fixed_size 0
		.amdhsa_kernarg_size 104
		.amdhsa_user_sgpr_count 2
		.amdhsa_user_sgpr_dispatch_ptr 0
		.amdhsa_user_sgpr_queue_ptr 0
		.amdhsa_user_sgpr_kernarg_segment_ptr 1
		.amdhsa_user_sgpr_dispatch_id 0
		.amdhsa_user_sgpr_kernarg_preload_length 0
		.amdhsa_user_sgpr_kernarg_preload_offset 0
		.amdhsa_user_sgpr_private_segment_size 0
		.amdhsa_uses_dynamic_stack 0
		.amdhsa_enable_private_segment 0
		.amdhsa_system_sgpr_workgroup_id_x 1
		.amdhsa_system_sgpr_workgroup_id_y 0
		.amdhsa_system_sgpr_workgroup_id_z 0
		.amdhsa_system_sgpr_workgroup_info 0
		.amdhsa_system_vgpr_workitem_id 0
		.amdhsa_next_free_vgpr 86
		.amdhsa_next_free_sgpr 18
		.amdhsa_accum_offset 88
		.amdhsa_reserve_vcc 1
		.amdhsa_float_round_mode_32 0
		.amdhsa_float_round_mode_16_64 0
		.amdhsa_float_denorm_mode_32 3
		.amdhsa_float_denorm_mode_16_64 3
		.amdhsa_dx10_clamp 1
		.amdhsa_ieee_mode 1
		.amdhsa_fp16_overflow 0
		.amdhsa_tg_split 0
		.amdhsa_exception_fp_ieee_invalid_op 0
		.amdhsa_exception_fp_denorm_src 0
		.amdhsa_exception_fp_ieee_div_zero 0
		.amdhsa_exception_fp_ieee_overflow 0
		.amdhsa_exception_fp_ieee_underflow 0
		.amdhsa_exception_fp_ieee_inexact 0
		.amdhsa_exception_int_div_zero 0
	.end_amdhsa_kernel
	.text
.Lfunc_end0:
	.size	bluestein_single_back_len1500_dim1_half_op_CI_CI, .Lfunc_end0-bluestein_single_back_len1500_dim1_half_op_CI_CI
                                        ; -- End function
	.section	.AMDGPU.csdata,"",@progbits
; Kernel info:
; codeLenInByte = 16448
; NumSgprs: 24
; NumVgprs: 86
; NumAgprs: 0
; TotalNumVgprs: 86
; ScratchSize: 0
; MemoryBound: 0
; FloatMode: 240
; IeeeMode: 1
; LDSByteSize: 6000 bytes/workgroup (compile time only)
; SGPRBlocks: 2
; VGPRBlocks: 10
; NumSGPRsForWavesPerEU: 24
; NumVGPRsForWavesPerEU: 86
; AccumOffset: 88
; Occupancy: 5
; WaveLimiterHint : 1
; COMPUTE_PGM_RSRC2:SCRATCH_EN: 0
; COMPUTE_PGM_RSRC2:USER_SGPR: 2
; COMPUTE_PGM_RSRC2:TRAP_HANDLER: 0
; COMPUTE_PGM_RSRC2:TGID_X_EN: 1
; COMPUTE_PGM_RSRC2:TGID_Y_EN: 0
; COMPUTE_PGM_RSRC2:TGID_Z_EN: 0
; COMPUTE_PGM_RSRC2:TIDIG_COMP_CNT: 0
; COMPUTE_PGM_RSRC3_GFX90A:ACCUM_OFFSET: 21
; COMPUTE_PGM_RSRC3_GFX90A:TG_SPLIT: 0
	.text
	.p2alignl 6, 3212836864
	.fill 256, 4, 3212836864
	.type	__hip_cuid_9db3ea994308f062,@object ; @__hip_cuid_9db3ea994308f062
	.section	.bss,"aw",@nobits
	.globl	__hip_cuid_9db3ea994308f062
__hip_cuid_9db3ea994308f062:
	.byte	0                               ; 0x0
	.size	__hip_cuid_9db3ea994308f062, 1

	.ident	"AMD clang version 19.0.0git (https://github.com/RadeonOpenCompute/llvm-project roc-6.4.0 25133 c7fe45cf4b819c5991fe208aaa96edf142730f1d)"
	.section	".note.GNU-stack","",@progbits
	.addrsig
	.addrsig_sym __hip_cuid_9db3ea994308f062
	.amdgpu_metadata
---
amdhsa.kernels:
  - .agpr_count:     0
    .args:
      - .actual_access:  read_only
        .address_space:  global
        .offset:         0
        .size:           8
        .value_kind:     global_buffer
      - .actual_access:  read_only
        .address_space:  global
        .offset:         8
        .size:           8
        .value_kind:     global_buffer
      - .actual_access:  read_only
        .address_space:  global
        .offset:         16
        .size:           8
        .value_kind:     global_buffer
      - .actual_access:  read_only
        .address_space:  global
        .offset:         24
        .size:           8
        .value_kind:     global_buffer
      - .actual_access:  read_only
        .address_space:  global
        .offset:         32
        .size:           8
        .value_kind:     global_buffer
      - .offset:         40
        .size:           8
        .value_kind:     by_value
      - .address_space:  global
        .offset:         48
        .size:           8
        .value_kind:     global_buffer
      - .address_space:  global
        .offset:         56
        .size:           8
        .value_kind:     global_buffer
      - .address_space:  global
        .offset:         64
        .size:           8
        .value_kind:     global_buffer
      - .address_space:  global
        .offset:         72
        .size:           8
        .value_kind:     global_buffer
      - .offset:         80
        .size:           4
        .value_kind:     by_value
      - .address_space:  global
        .offset:         88
        .size:           8
        .value_kind:     global_buffer
      - .address_space:  global
        .offset:         96
        .size:           8
        .value_kind:     global_buffer
    .group_segment_fixed_size: 6000
    .kernarg_segment_align: 8
    .kernarg_segment_size: 104
    .language:       OpenCL C
    .language_version:
      - 2
      - 0
    .max_flat_workgroup_size: 150
    .name:           bluestein_single_back_len1500_dim1_half_op_CI_CI
    .private_segment_fixed_size: 0
    .sgpr_count:     24
    .sgpr_spill_count: 0
    .symbol:         bluestein_single_back_len1500_dim1_half_op_CI_CI.kd
    .uniform_work_group_size: 1
    .uses_dynamic_stack: false
    .vgpr_count:     86
    .vgpr_spill_count: 0
    .wavefront_size: 64
amdhsa.target:   amdgcn-amd-amdhsa--gfx950
amdhsa.version:
  - 1
  - 2
...

	.end_amdgpu_metadata
